;; amdgpu-corpus repo=ROCm/rocSOLVER kind=compiled arch=gfx90a opt=O3
	.text
	.amdgcn_target "amdgcn-amd-amdhsa--gfx90a"
	.amdhsa_code_object_version 6
	.section	.text._ZN9rocsolver6v33100L10reset_infoIiiiEEvPT_T0_T1_S4_,"axG",@progbits,_ZN9rocsolver6v33100L10reset_infoIiiiEEvPT_T0_T1_S4_,comdat
	.globl	_ZN9rocsolver6v33100L10reset_infoIiiiEEvPT_T0_T1_S4_ ; -- Begin function _ZN9rocsolver6v33100L10reset_infoIiiiEEvPT_T0_T1_S4_
	.p2align	8
	.type	_ZN9rocsolver6v33100L10reset_infoIiiiEEvPT_T0_T1_S4_,@function
_ZN9rocsolver6v33100L10reset_infoIiiiEEvPT_T0_T1_S4_: ; @_ZN9rocsolver6v33100L10reset_infoIiiiEEvPT_T0_T1_S4_
; %bb.0:
	s_load_dword s7, s[4:5], 0x24
	s_load_dwordx4 s[0:3], s[4:5], 0x8
	s_waitcnt lgkmcnt(0)
	s_and_b32 s3, s7, 0xffff
	s_mul_i32 s6, s6, s3
	v_add_u32_e32 v0, s6, v0
	v_cmp_gt_i32_e32 vcc, s0, v0
	s_and_saveexec_b64 s[6:7], vcc
	s_cbranch_execz .LBB0_2
; %bb.1:
	s_load_dwordx2 s[4:5], s[4:5], 0x0
	v_ashrrev_i32_e32 v1, 31, v0
	v_lshlrev_b64 v[2:3], 2, v[0:1]
	v_mul_lo_u32 v0, v0, s2
	v_add_u32_e32 v0, s1, v0
	s_waitcnt lgkmcnt(0)
	v_mov_b32_e32 v1, s5
	v_add_co_u32_e32 v2, vcc, s4, v2
	v_addc_co_u32_e32 v3, vcc, v1, v3, vcc
	global_store_dword v[2:3], v0, off
.LBB0_2:
	s_endpgm
	.section	.rodata,"a",@progbits
	.p2align	6, 0x0
	.amdhsa_kernel _ZN9rocsolver6v33100L10reset_infoIiiiEEvPT_T0_T1_S4_
		.amdhsa_group_segment_fixed_size 0
		.amdhsa_private_segment_fixed_size 0
		.amdhsa_kernarg_size 280
		.amdhsa_user_sgpr_count 6
		.amdhsa_user_sgpr_private_segment_buffer 1
		.amdhsa_user_sgpr_dispatch_ptr 0
		.amdhsa_user_sgpr_queue_ptr 0
		.amdhsa_user_sgpr_kernarg_segment_ptr 1
		.amdhsa_user_sgpr_dispatch_id 0
		.amdhsa_user_sgpr_flat_scratch_init 0
		.amdhsa_user_sgpr_kernarg_preload_length 0
		.amdhsa_user_sgpr_kernarg_preload_offset 0
		.amdhsa_user_sgpr_private_segment_size 0
		.amdhsa_uses_dynamic_stack 0
		.amdhsa_system_sgpr_private_segment_wavefront_offset 0
		.amdhsa_system_sgpr_workgroup_id_x 1
		.amdhsa_system_sgpr_workgroup_id_y 0
		.amdhsa_system_sgpr_workgroup_id_z 0
		.amdhsa_system_sgpr_workgroup_info 0
		.amdhsa_system_vgpr_workitem_id 0
		.amdhsa_next_free_vgpr 4
		.amdhsa_next_free_sgpr 8
		.amdhsa_accum_offset 4
		.amdhsa_reserve_vcc 1
		.amdhsa_reserve_flat_scratch 0
		.amdhsa_float_round_mode_32 0
		.amdhsa_float_round_mode_16_64 0
		.amdhsa_float_denorm_mode_32 3
		.amdhsa_float_denorm_mode_16_64 3
		.amdhsa_dx10_clamp 1
		.amdhsa_ieee_mode 1
		.amdhsa_fp16_overflow 0
		.amdhsa_tg_split 0
		.amdhsa_exception_fp_ieee_invalid_op 0
		.amdhsa_exception_fp_denorm_src 0
		.amdhsa_exception_fp_ieee_div_zero 0
		.amdhsa_exception_fp_ieee_overflow 0
		.amdhsa_exception_fp_ieee_underflow 0
		.amdhsa_exception_fp_ieee_inexact 0
		.amdhsa_exception_int_div_zero 0
	.end_amdhsa_kernel
	.section	.text._ZN9rocsolver6v33100L10reset_infoIiiiEEvPT_T0_T1_S4_,"axG",@progbits,_ZN9rocsolver6v33100L10reset_infoIiiiEEvPT_T0_T1_S4_,comdat
.Lfunc_end0:
	.size	_ZN9rocsolver6v33100L10reset_infoIiiiEEvPT_T0_T1_S4_, .Lfunc_end0-_ZN9rocsolver6v33100L10reset_infoIiiiEEvPT_T0_T1_S4_
                                        ; -- End function
	.section	.AMDGPU.csdata,"",@progbits
; Kernel info:
; codeLenInByte = 108
; NumSgprs: 12
; NumVgprs: 4
; NumAgprs: 0
; TotalNumVgprs: 4
; ScratchSize: 0
; MemoryBound: 0
; FloatMode: 240
; IeeeMode: 1
; LDSByteSize: 0 bytes/workgroup (compile time only)
; SGPRBlocks: 1
; VGPRBlocks: 0
; NumSGPRsForWavesPerEU: 12
; NumVGPRsForWavesPerEU: 4
; AccumOffset: 4
; Occupancy: 8
; WaveLimiterHint : 0
; COMPUTE_PGM_RSRC2:SCRATCH_EN: 0
; COMPUTE_PGM_RSRC2:USER_SGPR: 6
; COMPUTE_PGM_RSRC2:TRAP_HANDLER: 0
; COMPUTE_PGM_RSRC2:TGID_X_EN: 1
; COMPUTE_PGM_RSRC2:TGID_Y_EN: 0
; COMPUTE_PGM_RSRC2:TGID_Z_EN: 0
; COMPUTE_PGM_RSRC2:TIDIG_COMP_CNT: 0
; COMPUTE_PGM_RSRC3_GFX90A:ACCUM_OFFSET: 0
; COMPUTE_PGM_RSRC3_GFX90A:TG_SPLIT: 0
	.section	.text._ZN9rocsolver6v33100L16reset_batch_infoIfiiPfEEvT2_lT0_T1_,"axG",@progbits,_ZN9rocsolver6v33100L16reset_batch_infoIfiiPfEEvT2_lT0_T1_,comdat
	.globl	_ZN9rocsolver6v33100L16reset_batch_infoIfiiPfEEvT2_lT0_T1_ ; -- Begin function _ZN9rocsolver6v33100L16reset_batch_infoIfiiPfEEvT2_lT0_T1_
	.p2align	8
	.type	_ZN9rocsolver6v33100L16reset_batch_infoIfiiPfEEvT2_lT0_T1_,@function
_ZN9rocsolver6v33100L16reset_batch_infoIfiiPfEEvT2_lT0_T1_: ; @_ZN9rocsolver6v33100L16reset_batch_infoIfiiPfEEvT2_lT0_T1_
; %bb.0:
	s_load_dword s2, s[4:5], 0x24
	s_load_dwordx2 s[0:1], s[4:5], 0x10
	s_waitcnt lgkmcnt(0)
	s_and_b32 s2, s2, 0xffff
	s_mul_i32 s6, s6, s2
	v_add_u32_e32 v0, s6, v0
	v_cmp_gt_i32_e32 vcc, s0, v0
	s_and_saveexec_b64 s[2:3], vcc
	s_cbranch_execz .LBB1_2
; %bb.1:
	s_load_dwordx4 s[8:11], s[4:5], 0x0
	s_ashr_i32 s0, s7, 31
	v_ashrrev_i32_e32 v1, 31, v0
	v_cvt_f32_i32_e32 v3, s1
	v_lshlrev_b64 v[0:1], 2, v[0:1]
	s_waitcnt lgkmcnt(0)
	s_mul_i32 s3, s7, s11
	s_mul_hi_u32 s4, s7, s10
	s_mul_i32 s0, s0, s10
	s_add_i32 s3, s4, s3
	s_mul_i32 s2, s7, s10
	s_add_i32 s3, s3, s0
	s_lshl_b64 s[2:3], s[2:3], 2
	s_add_u32 s0, s8, s2
	s_addc_u32 s2, s9, s3
	v_mov_b32_e32 v2, s2
	v_add_co_u32_e32 v0, vcc, s0, v0
	v_addc_co_u32_e32 v1, vcc, v2, v1, vcc
	global_store_dword v[0:1], v3, off
.LBB1_2:
	s_endpgm
	.section	.rodata,"a",@progbits
	.p2align	6, 0x0
	.amdhsa_kernel _ZN9rocsolver6v33100L16reset_batch_infoIfiiPfEEvT2_lT0_T1_
		.amdhsa_group_segment_fixed_size 0
		.amdhsa_private_segment_fixed_size 0
		.amdhsa_kernarg_size 280
		.amdhsa_user_sgpr_count 6
		.amdhsa_user_sgpr_private_segment_buffer 1
		.amdhsa_user_sgpr_dispatch_ptr 0
		.amdhsa_user_sgpr_queue_ptr 0
		.amdhsa_user_sgpr_kernarg_segment_ptr 1
		.amdhsa_user_sgpr_dispatch_id 0
		.amdhsa_user_sgpr_flat_scratch_init 0
		.amdhsa_user_sgpr_kernarg_preload_length 0
		.amdhsa_user_sgpr_kernarg_preload_offset 0
		.amdhsa_user_sgpr_private_segment_size 0
		.amdhsa_uses_dynamic_stack 0
		.amdhsa_system_sgpr_private_segment_wavefront_offset 0
		.amdhsa_system_sgpr_workgroup_id_x 1
		.amdhsa_system_sgpr_workgroup_id_y 1
		.amdhsa_system_sgpr_workgroup_id_z 0
		.amdhsa_system_sgpr_workgroup_info 0
		.amdhsa_system_vgpr_workitem_id 0
		.amdhsa_next_free_vgpr 4
		.amdhsa_next_free_sgpr 12
		.amdhsa_accum_offset 4
		.amdhsa_reserve_vcc 1
		.amdhsa_reserve_flat_scratch 0
		.amdhsa_float_round_mode_32 0
		.amdhsa_float_round_mode_16_64 0
		.amdhsa_float_denorm_mode_32 3
		.amdhsa_float_denorm_mode_16_64 3
		.amdhsa_dx10_clamp 1
		.amdhsa_ieee_mode 1
		.amdhsa_fp16_overflow 0
		.amdhsa_tg_split 0
		.amdhsa_exception_fp_ieee_invalid_op 0
		.amdhsa_exception_fp_denorm_src 0
		.amdhsa_exception_fp_ieee_div_zero 0
		.amdhsa_exception_fp_ieee_overflow 0
		.amdhsa_exception_fp_ieee_underflow 0
		.amdhsa_exception_fp_ieee_inexact 0
		.amdhsa_exception_int_div_zero 0
	.end_amdhsa_kernel
	.section	.text._ZN9rocsolver6v33100L16reset_batch_infoIfiiPfEEvT2_lT0_T1_,"axG",@progbits,_ZN9rocsolver6v33100L16reset_batch_infoIfiiPfEEvT2_lT0_T1_,comdat
.Lfunc_end1:
	.size	_ZN9rocsolver6v33100L16reset_batch_infoIfiiPfEEvT2_lT0_T1_, .Lfunc_end1-_ZN9rocsolver6v33100L16reset_batch_infoIfiiPfEEvT2_lT0_T1_
                                        ; -- End function
	.section	.AMDGPU.csdata,"",@progbits
; Kernel info:
; codeLenInByte = 140
; NumSgprs: 16
; NumVgprs: 4
; NumAgprs: 0
; TotalNumVgprs: 4
; ScratchSize: 0
; MemoryBound: 0
; FloatMode: 240
; IeeeMode: 1
; LDSByteSize: 0 bytes/workgroup (compile time only)
; SGPRBlocks: 1
; VGPRBlocks: 0
; NumSGPRsForWavesPerEU: 16
; NumVGPRsForWavesPerEU: 4
; AccumOffset: 4
; Occupancy: 8
; WaveLimiterHint : 0
; COMPUTE_PGM_RSRC2:SCRATCH_EN: 0
; COMPUTE_PGM_RSRC2:USER_SGPR: 6
; COMPUTE_PGM_RSRC2:TRAP_HANDLER: 0
; COMPUTE_PGM_RSRC2:TGID_X_EN: 1
; COMPUTE_PGM_RSRC2:TGID_Y_EN: 1
; COMPUTE_PGM_RSRC2:TGID_Z_EN: 0
; COMPUTE_PGM_RSRC2:TIDIG_COMP_CNT: 0
; COMPUTE_PGM_RSRC3_GFX90A:ACCUM_OFFSET: 0
; COMPUTE_PGM_RSRC3_GFX90A:TG_SPLIT: 0
	.section	.text._ZN9rocsolver6v33100L19stedcx_case1_kernelIfEEv15rocblas_erange_T_S3_PS3_lPiS4_l,"axG",@progbits,_ZN9rocsolver6v33100L19stedcx_case1_kernelIfEEv15rocblas_erange_T_S3_PS3_lPiS4_l,comdat
	.globl	_ZN9rocsolver6v33100L19stedcx_case1_kernelIfEEv15rocblas_erange_T_S3_PS3_lPiS4_l ; -- Begin function _ZN9rocsolver6v33100L19stedcx_case1_kernelIfEEv15rocblas_erange_T_S3_PS3_lPiS4_l
	.p2align	8
	.type	_ZN9rocsolver6v33100L19stedcx_case1_kernelIfEEv15rocblas_erange_T_S3_PS3_lPiS4_l,@function
_ZN9rocsolver6v33100L19stedcx_case1_kernelIfEEv15rocblas_erange_T_S3_PS3_lPiS4_l: ; @_ZN9rocsolver6v33100L19stedcx_case1_kernelIfEEv15rocblas_erange_T_S3_PS3_lPiS4_l
; %bb.0:
	s_load_dwordx8 s[8:15], s[4:5], 0x10
	s_load_dwordx4 s[0:3], s[4:5], 0x0
	s_ashr_i32 s7, s6, 31
	s_waitcnt lgkmcnt(0)
	s_mul_i32 s3, s6, s11
	s_mul_hi_u32 s11, s6, s10
	s_add_i32 s3, s11, s3
	s_mul_i32 s11, s7, s10
	s_add_i32 s11, s3, s11
	s_mul_i32 s10, s6, s10
	s_lshl_b64 s[10:11], s[10:11], 2
	s_add_u32 s8, s8, s10
	s_addc_u32 s9, s9, s11
	s_load_dword s3, s[8:9], 0x0
	s_cmpk_lg_i32 s0, 0xe8
	s_cselect_b64 s[8:9], -1, 0
	s_and_b64 vcc, exec, s[8:9]
	s_cbranch_vccnz .LBB2_2
; %bb.1:
	v_mov_b32_e32 v0, s1
	s_waitcnt lgkmcnt(0)
	v_cmp_nle_f32_e32 vcc, s3, v0
	v_mov_b32_e32 v0, s2
	v_cmp_ngt_f32_e64 s[0:1], s3, v0
	s_and_b64 s[8:9], vcc, s[0:1]
	s_mov_b64 s[0:1], -1
	s_andn2_b64 vcc, exec, s[8:9]
	s_cbranch_vccz .LBB2_3
	s_branch .LBB2_4
.LBB2_2:
	s_mov_b64 s[0:1], 0
	s_andn2_b64 vcc, exec, s[8:9]
	s_cbranch_vccnz .LBB2_4
.LBB2_3:
	s_load_dwordx2 s[0:1], s[4:5], 0x30
	v_mov_b32_e32 v0, 0
	v_mov_b32_e32 v1, 1
	s_waitcnt lgkmcnt(0)
	s_mul_i32 s1, s6, s1
	s_mul_hi_u32 s2, s6, s0
	s_mul_i32 s4, s7, s0
	s_add_i32 s1, s2, s1
	s_mul_i32 s0, s6, s0
	s_add_i32 s1, s1, s4
	s_lshl_b64 s[0:1], s[0:1], 2
	s_add_u32 s0, s14, s0
	s_addc_u32 s1, s15, s1
	s_lshl_b64 s[4:5], s[6:7], 2
	s_add_u32 s4, s12, s4
	s_addc_u32 s5, s13, s5
	global_store_dword v0, v1, s[4:5]
	v_mov_b32_e32 v1, s3
	global_store_dword v0, v1, s[0:1]
	s_mov_b64 s[0:1], 0
.LBB2_4:
	s_andn2_b64 vcc, exec, s[0:1]
	s_cbranch_vccnz .LBB2_6
; %bb.5:
	s_lshl_b64 s[0:1], s[6:7], 2
	s_add_u32 s0, s12, s0
	s_addc_u32 s1, s13, s1
	v_mov_b32_e32 v0, 0
	global_store_dword v0, v0, s[0:1]
.LBB2_6:
	s_endpgm
	.section	.rodata,"a",@progbits
	.p2align	6, 0x0
	.amdhsa_kernel _ZN9rocsolver6v33100L19stedcx_case1_kernelIfEEv15rocblas_erange_T_S3_PS3_lPiS4_l
		.amdhsa_group_segment_fixed_size 0
		.amdhsa_private_segment_fixed_size 0
		.amdhsa_kernarg_size 56
		.amdhsa_user_sgpr_count 6
		.amdhsa_user_sgpr_private_segment_buffer 1
		.amdhsa_user_sgpr_dispatch_ptr 0
		.amdhsa_user_sgpr_queue_ptr 0
		.amdhsa_user_sgpr_kernarg_segment_ptr 1
		.amdhsa_user_sgpr_dispatch_id 0
		.amdhsa_user_sgpr_flat_scratch_init 0
		.amdhsa_user_sgpr_kernarg_preload_length 0
		.amdhsa_user_sgpr_kernarg_preload_offset 0
		.amdhsa_user_sgpr_private_segment_size 0
		.amdhsa_uses_dynamic_stack 0
		.amdhsa_system_sgpr_private_segment_wavefront_offset 0
		.amdhsa_system_sgpr_workgroup_id_x 1
		.amdhsa_system_sgpr_workgroup_id_y 0
		.amdhsa_system_sgpr_workgroup_id_z 0
		.amdhsa_system_sgpr_workgroup_info 0
		.amdhsa_system_vgpr_workitem_id 0
		.amdhsa_next_free_vgpr 2
		.amdhsa_next_free_sgpr 16
		.amdhsa_accum_offset 4
		.amdhsa_reserve_vcc 1
		.amdhsa_reserve_flat_scratch 0
		.amdhsa_float_round_mode_32 0
		.amdhsa_float_round_mode_16_64 0
		.amdhsa_float_denorm_mode_32 3
		.amdhsa_float_denorm_mode_16_64 3
		.amdhsa_dx10_clamp 1
		.amdhsa_ieee_mode 1
		.amdhsa_fp16_overflow 0
		.amdhsa_tg_split 0
		.amdhsa_exception_fp_ieee_invalid_op 0
		.amdhsa_exception_fp_denorm_src 0
		.amdhsa_exception_fp_ieee_div_zero 0
		.amdhsa_exception_fp_ieee_overflow 0
		.amdhsa_exception_fp_ieee_underflow 0
		.amdhsa_exception_fp_ieee_inexact 0
		.amdhsa_exception_int_div_zero 0
	.end_amdhsa_kernel
	.section	.text._ZN9rocsolver6v33100L19stedcx_case1_kernelIfEEv15rocblas_erange_T_S3_PS3_lPiS4_l,"axG",@progbits,_ZN9rocsolver6v33100L19stedcx_case1_kernelIfEEv15rocblas_erange_T_S3_PS3_lPiS4_l,comdat
.Lfunc_end2:
	.size	_ZN9rocsolver6v33100L19stedcx_case1_kernelIfEEv15rocblas_erange_T_S3_PS3_lPiS4_l, .Lfunc_end2-_ZN9rocsolver6v33100L19stedcx_case1_kernelIfEEv15rocblas_erange_T_S3_PS3_lPiS4_l
                                        ; -- End function
	.section	.AMDGPU.csdata,"",@progbits
; Kernel info:
; codeLenInByte = 268
; NumSgprs: 20
; NumVgprs: 2
; NumAgprs: 0
; TotalNumVgprs: 2
; ScratchSize: 0
; MemoryBound: 0
; FloatMode: 240
; IeeeMode: 1
; LDSByteSize: 0 bytes/workgroup (compile time only)
; SGPRBlocks: 2
; VGPRBlocks: 0
; NumSGPRsForWavesPerEU: 20
; NumVGPRsForWavesPerEU: 2
; AccumOffset: 4
; Occupancy: 8
; WaveLimiterHint : 0
; COMPUTE_PGM_RSRC2:SCRATCH_EN: 0
; COMPUTE_PGM_RSRC2:USER_SGPR: 6
; COMPUTE_PGM_RSRC2:TRAP_HANDLER: 0
; COMPUTE_PGM_RSRC2:TGID_X_EN: 1
; COMPUTE_PGM_RSRC2:TGID_Y_EN: 0
; COMPUTE_PGM_RSRC2:TGID_Z_EN: 0
; COMPUTE_PGM_RSRC2:TIDIG_COMP_CNT: 0
; COMPUTE_PGM_RSRC3_GFX90A:ACCUM_OFFSET: 0
; COMPUTE_PGM_RSRC3_GFX90A:TG_SPLIT: 0
	.section	.text._ZN9rocsolver6v33100L10init_identIfPfEEviiT0_iil,"axG",@progbits,_ZN9rocsolver6v33100L10init_identIfPfEEviiT0_iil,comdat
	.globl	_ZN9rocsolver6v33100L10init_identIfPfEEviiT0_iil ; -- Begin function _ZN9rocsolver6v33100L10init_identIfPfEEviiT0_iil
	.p2align	8
	.type	_ZN9rocsolver6v33100L10init_identIfPfEEviiT0_iil,@function
_ZN9rocsolver6v33100L10init_identIfPfEEviiT0_iil: ; @_ZN9rocsolver6v33100L10init_identIfPfEEviiT0_iil
; %bb.0:
	s_load_dword s2, s[4:5], 0x2c
	s_load_dwordx2 s[0:1], s[4:5], 0x0
	v_and_b32_e32 v1, 0x3ff, v0
	v_bfe_u32 v0, v0, 10, 10
	s_waitcnt lgkmcnt(0)
	s_lshr_b32 s3, s2, 16
	s_and_b32 s2, s2, 0xffff
	s_mul_i32 s6, s6, s2
	s_mul_i32 s7, s7, s3
	v_add_u32_e32 v2, s6, v1
	v_add_u32_e32 v1, s7, v0
	v_cmp_gt_u32_e32 vcc, s0, v2
	v_cmp_gt_u32_e64 s[0:1], s1, v1
	s_and_b64 s[0:1], vcc, s[0:1]
	s_and_saveexec_b64 s[2:3], s[0:1]
	s_cbranch_execz .LBB3_6
; %bb.1:
	s_load_dwordx2 s[0:1], s[4:5], 0x10
	v_cmp_ne_u32_e32 vcc, v2, v1
                                        ; implicit-def: $sgpr6
                                        ; implicit-def: $vgpr0
	s_and_saveexec_b64 s[2:3], vcc
	s_xor_b64 s[2:3], exec, s[2:3]
	s_cbranch_execz .LBB3_3
; %bb.2:
	s_waitcnt lgkmcnt(0)
	v_mad_u64_u32 v[0:1], s[6:7], v1, s1, v[2:3]
	s_mov_b32 s6, 0
                                        ; implicit-def: $vgpr2
.LBB3_3:
	s_or_saveexec_b64 s[2:3], s[2:3]
	v_mov_b32_e32 v3, s6
	s_xor_b64 exec, exec, s[2:3]
	s_cbranch_execz .LBB3_5
; %bb.4:
	s_waitcnt lgkmcnt(0)
	v_mad_u64_u32 v[0:1], s[6:7], v2, s1, v[2:3]
	v_mov_b32_e32 v3, 1.0
.LBB3_5:
	s_or_b64 exec, exec, s[2:3]
	s_load_dwordx2 s[2:3], s[4:5], 0x18
	s_load_dwordx2 s[6:7], s[4:5], 0x8
	s_waitcnt lgkmcnt(0)
	s_ashr_i32 s1, s0, 31
	v_mov_b32_e32 v1, 0
	v_lshlrev_b64 v[0:1], 2, v[0:1]
	s_mul_i32 s3, s8, s3
	s_mul_hi_u32 s4, s8, s2
	s_mul_i32 s2, s8, s2
	s_add_i32 s3, s4, s3
	s_lshl_b64 s[2:3], s[2:3], 2
	s_add_u32 s2, s6, s2
	s_addc_u32 s3, s7, s3
	s_lshl_b64 s[0:1], s[0:1], 2
	s_add_u32 s0, s2, s0
	s_addc_u32 s1, s3, s1
	v_mov_b32_e32 v2, s1
	v_add_co_u32_e32 v0, vcc, s0, v0
	v_addc_co_u32_e32 v1, vcc, v2, v1, vcc
	global_store_dword v[0:1], v3, off
.LBB3_6:
	s_endpgm
	.section	.rodata,"a",@progbits
	.p2align	6, 0x0
	.amdhsa_kernel _ZN9rocsolver6v33100L10init_identIfPfEEviiT0_iil
		.amdhsa_group_segment_fixed_size 0
		.amdhsa_private_segment_fixed_size 0
		.amdhsa_kernarg_size 288
		.amdhsa_user_sgpr_count 6
		.amdhsa_user_sgpr_private_segment_buffer 1
		.amdhsa_user_sgpr_dispatch_ptr 0
		.amdhsa_user_sgpr_queue_ptr 0
		.amdhsa_user_sgpr_kernarg_segment_ptr 1
		.amdhsa_user_sgpr_dispatch_id 0
		.amdhsa_user_sgpr_flat_scratch_init 0
		.amdhsa_user_sgpr_kernarg_preload_length 0
		.amdhsa_user_sgpr_kernarg_preload_offset 0
		.amdhsa_user_sgpr_private_segment_size 0
		.amdhsa_uses_dynamic_stack 0
		.amdhsa_system_sgpr_private_segment_wavefront_offset 0
		.amdhsa_system_sgpr_workgroup_id_x 1
		.amdhsa_system_sgpr_workgroup_id_y 1
		.amdhsa_system_sgpr_workgroup_id_z 1
		.amdhsa_system_sgpr_workgroup_info 0
		.amdhsa_system_vgpr_workitem_id 1
		.amdhsa_next_free_vgpr 4
		.amdhsa_next_free_sgpr 9
		.amdhsa_accum_offset 4
		.amdhsa_reserve_vcc 1
		.amdhsa_reserve_flat_scratch 0
		.amdhsa_float_round_mode_32 0
		.amdhsa_float_round_mode_16_64 0
		.amdhsa_float_denorm_mode_32 3
		.amdhsa_float_denorm_mode_16_64 3
		.amdhsa_dx10_clamp 1
		.amdhsa_ieee_mode 1
		.amdhsa_fp16_overflow 0
		.amdhsa_tg_split 0
		.amdhsa_exception_fp_ieee_invalid_op 0
		.amdhsa_exception_fp_denorm_src 0
		.amdhsa_exception_fp_ieee_div_zero 0
		.amdhsa_exception_fp_ieee_overflow 0
		.amdhsa_exception_fp_ieee_underflow 0
		.amdhsa_exception_fp_ieee_inexact 0
		.amdhsa_exception_int_div_zero 0
	.end_amdhsa_kernel
	.section	.text._ZN9rocsolver6v33100L10init_identIfPfEEviiT0_iil,"axG",@progbits,_ZN9rocsolver6v33100L10init_identIfPfEEviiT0_iil,comdat
.Lfunc_end3:
	.size	_ZN9rocsolver6v33100L10init_identIfPfEEviiT0_iil, .Lfunc_end3-_ZN9rocsolver6v33100L10init_identIfPfEEviiT0_iil
                                        ; -- End function
	.section	.AMDGPU.csdata,"",@progbits
; Kernel info:
; codeLenInByte = 264
; NumSgprs: 13
; NumVgprs: 4
; NumAgprs: 0
; TotalNumVgprs: 4
; ScratchSize: 0
; MemoryBound: 0
; FloatMode: 240
; IeeeMode: 1
; LDSByteSize: 0 bytes/workgroup (compile time only)
; SGPRBlocks: 1
; VGPRBlocks: 0
; NumSGPRsForWavesPerEU: 13
; NumVGPRsForWavesPerEU: 4
; AccumOffset: 4
; Occupancy: 8
; WaveLimiterHint : 0
; COMPUTE_PGM_RSRC2:SCRATCH_EN: 0
; COMPUTE_PGM_RSRC2:USER_SGPR: 6
; COMPUTE_PGM_RSRC2:TRAP_HANDLER: 0
; COMPUTE_PGM_RSRC2:TGID_X_EN: 1
; COMPUTE_PGM_RSRC2:TGID_Y_EN: 1
; COMPUTE_PGM_RSRC2:TGID_Z_EN: 1
; COMPUTE_PGM_RSRC2:TIDIG_COMP_CNT: 1
; COMPUTE_PGM_RSRC3_GFX90A:ACCUM_OFFSET: 0
; COMPUTE_PGM_RSRC3_GFX90A:TG_SPLIT: 0
	.section	.text._ZN9rocsolver6v33100L19stedcx_split_kernelIfEEv15rocblas_erange_iT_S3_iiPS3_lS4_lS4_lPiS4_S3_S3_,"axG",@progbits,_ZN9rocsolver6v33100L19stedcx_split_kernelIfEEv15rocblas_erange_iT_S3_iiPS3_lS4_lS4_lPiS4_S3_S3_,comdat
	.globl	_ZN9rocsolver6v33100L19stedcx_split_kernelIfEEv15rocblas_erange_iT_S3_iiPS3_lS4_lS4_lPiS4_S3_S3_ ; -- Begin function _ZN9rocsolver6v33100L19stedcx_split_kernelIfEEv15rocblas_erange_iT_S3_iiPS3_lS4_lS4_lPiS4_S3_S3_
	.p2align	8
	.type	_ZN9rocsolver6v33100L19stedcx_split_kernelIfEEv15rocblas_erange_iT_S3_iiPS3_lS4_lS4_lPiS4_S3_S3_,@function
_ZN9rocsolver6v33100L19stedcx_split_kernelIfEEv15rocblas_erange_iT_S3_iiPS3_lS4_lS4_lPiS4_S3_S3_: ; @_ZN9rocsolver6v33100L19stedcx_split_kernelIfEEv15rocblas_erange_iT_S3_iiPS3_lS4_lS4_lPiS4_S3_S3_
; %bb.0:
	s_load_dwordx16 s[12:27], s[4:5], 0x18
	s_load_dwordx4 s[28:31], s[4:5], 0x0
	s_load_dwordx2 s[10:11], s[4:5], 0x10
	s_ashr_i32 s50, s7, 31
	v_lshlrev_b32_e32 v1, 2, v0
	s_waitcnt lgkmcnt(0)
	s_mul_i32 s0, s7, s15
	s_mul_hi_u32 s1, s7, s14
	s_add_i32 s0, s1, s0
	s_mul_i32 s1, s50, s14
	s_add_i32 s43, s0, s1
	s_ashr_i32 s15, s29, 31
	s_lshl_b32 s6, s29, 2
	s_cmpk_eq_i32 s28, 0xe9
	s_cselect_b64 s[44:45], -1, 0
	v_cmp_gt_i32_e32 vcc, s29, v0
	s_mul_i32 s42, s7, s14
	s_mov_b32 s14, s29
	s_and_b64 s[2:3], s[44:45], vcc
	s_and_saveexec_b64 s[0:1], s[2:3]
	s_cbranch_execz .LBB4_3
; %bb.1:
	s_load_dword s33, s[4:5], 0x6c
	s_add_i32 s8, s6, 2
	s_mul_i32 s8, s7, s8
	s_ashr_i32 s9, s8, 31
	s_lshl_b64 s[2:3], s[14:15], 2
	s_waitcnt lgkmcnt(0)
	s_and_b32 s33, s33, 0xffff
	s_lshl_b64 s[8:9], s[8:9], 2
	s_add_u32 s2, s2, s8
	s_addc_u32 s3, s3, s9
	s_add_u32 s2, s26, s2
	s_addc_u32 s3, s27, s3
	v_mov_b32_e32 v2, s3
	v_add_co_u32_e32 v3, vcc, s2, v1
	v_addc_co_u32_e32 v4, vcc, 0, v2, vcc
	s_lshl_b32 s34, s33, 2
	s_lshl_b64 s[2:3], s[42:43], 2
	v_add_co_u32_e32 v2, vcc, 8, v3
	s_add_u32 s2, s12, s2
	v_addc_co_u32_e32 v3, vcc, 0, v4, vcc
	s_addc_u32 s3, s13, s3
	v_mov_b32_e32 v5, s3
	v_add_co_u32_e32 v4, vcc, s2, v1
	v_addc_co_u32_e32 v5, vcc, 0, v5, vcc
	s_mov_b64 s[2:3], 0
	s_mov_b64 s[8:9], 0
	v_mov_b32_e32 v6, v0
.LBB4_2:                                ; =>This Inner Loop Header: Depth=1
	v_mov_b32_e32 v7, s9
	v_add_co_u32_e32 v8, vcc, s8, v4
	v_addc_co_u32_e32 v9, vcc, v5, v7, vcc
	global_load_dword v10, v[8:9], off
	v_add_co_u32_e32 v8, vcc, s8, v2
	v_add_u32_e32 v6, s33, v6
	s_add_u32 s8, s8, s34
	v_addc_co_u32_e32 v9, vcc, v3, v7, vcc
	s_addc_u32 s9, s9, 0
	v_cmp_le_i32_e32 vcc, s29, v6
	s_or_b64 s[2:3], vcc, s[2:3]
	s_waitcnt vmcnt(0)
	global_store_dword v[8:9], v10, off
	s_andn2_b64 exec, exec, s[2:3]
	s_cbranch_execnz .LBB4_2
.LBB4_3:
	s_or_b64 exec, exec, s[0:1]
	s_add_i32 s33, s29, -1
	s_ashr_i32 s0, s33, 31
	s_lshr_b32 s0, s0, 24
	s_add_i32 s0, s33, s0
	s_ashr_i32 s1, s0, 8
	s_and_b32 s0, s0, 0xffffff00
	s_sub_i32 s0, s33, s0
	v_mov_b32_e32 v3, s1
	v_cmp_gt_i32_e32 vcc, s0, v0
	v_addc_co_u32_e32 v14, vcc, 0, v3, vcc
	v_mov_b32_e32 v2, 0
	v_cmp_eq_u32_e64 s[0:1], 0, v0
	v_cmp_ne_u32_e32 vcc, 0, v0
	v_mov_b32_e32 v4, 0
	ds_write_b32 v1, v14
	s_waitcnt lgkmcnt(0)
	s_barrier
	s_and_saveexec_b64 s[8:9], vcc
	s_cbranch_execz .LBB4_19
; %bb.4:
	v_cmp_lt_u32_e64 s[2:3], 3, v0
	s_mov_b64 s[36:37], -1
	s_mov_b32 s38, 0
	v_mov_b32_e32 v4, 0
	v_mov_b32_e32 v3, 0
	s_and_saveexec_b64 s[34:35], s[2:3]
	s_cbranch_execz .LBB4_14
; %bb.5:
	v_add_u32_e32 v4, -4, v0
	v_lshrrev_b32_e32 v3, 2, v4
	s_mov_b32 s39, s38
	v_add_u32_e32 v3, 1, v3
	v_cmp_lt_u32_e64 s[2:3], 27, v4
	v_pk_mov_b32 v[6:7], s[38:39], s[38:39] op_sel:[0,1]
	v_mov_b32_e32 v9, 0
	v_pk_mov_b32 v[4:5], s[38:39], s[38:39] op_sel:[0,1]
	s_and_saveexec_b64 s[36:37], s[2:3]
	s_cbranch_execz .LBB4_9
; %bb.6:
	v_and_b32_e32 v8, 0x7ffffff8, v3
	s_mov_b32 s40, 0
	s_mov_b32 s41, 0
	s_mov_b64 s[38:39], 0
	v_mov_b32_e32 v4, 0
	v_mov_b32_e32 v5, 0
	;; [unrolled: 1-line block ×4, first 2 shown]
.LBB4_7:                                ; =>This Inner Loop Header: Depth=1
	v_mov_b32_e32 v9, s40
	ds_read_b128 v[10:13], v9
	ds_read_b128 v[16:19], v9 offset:16
	ds_read_b128 v[20:23], v9 offset:32
	;; [unrolled: 1-line block ×7, first 2 shown]
	s_waitcnt lgkmcnt(7)
	v_add_u32_e32 v4, v10, v4
	v_add_u32_e32 v5, v11, v5
	v_add_u32_e32 v6, v12, v6
	v_add_u32_e32 v7, v13, v7
	s_waitcnt lgkmcnt(6)
	v_add_u32_e32 v5, v17, v5
	v_add_u32_e32 v4, v16, v4
	v_add_u32_e32 v7, v19, v7
	v_add_u32_e32 v6, v18, v6
	;; [unrolled: 5-line block ×5, first 2 shown]
	v_add_u32_e32 v8, -8, v8
	s_waitcnt lgkmcnt(2)
	v_add_u32_e32 v5, v33, v5
	v_add_u32_e32 v4, v32, v4
	;; [unrolled: 1-line block ×4, first 2 shown]
	s_add_i32 s41, s41, 32
	s_addk_i32 s40, 0x80
	v_cmp_eq_u32_e64 s[2:3], 0, v8
	s_waitcnt lgkmcnt(1)
	v_add_u32_e32 v4, v36, v4
	v_add_u32_e32 v5, v37, v5
	;; [unrolled: 1-line block ×4, first 2 shown]
	v_mov_b32_e32 v9, s41
	s_or_b64 s[38:39], s[2:3], s[38:39]
	s_waitcnt lgkmcnt(0)
	v_add_u32_e32 v5, v41, v5
	v_add_u32_e32 v4, v40, v4
	;; [unrolled: 1-line block ×4, first 2 shown]
	s_andn2_b64 exec, exec, s[38:39]
	s_cbranch_execnz .LBB4_7
; %bb.8:
	s_or_b64 exec, exec, s[38:39]
.LBB4_9:
	s_or_b64 exec, exec, s[36:37]
	v_and_b32_e32 v3, 7, v3
	v_cmp_ne_u32_e64 s[2:3], 0, v3
	s_and_saveexec_b64 s[36:37], s[2:3]
	s_cbranch_execz .LBB4_13
; %bb.10:
	v_lshlrev_b32_e32 v8, 2, v9
	s_mov_b64 s[38:39], 0
.LBB4_11:                               ; =>This Inner Loop Header: Depth=1
	ds_read_b128 v[10:13], v8
	v_add_u32_e32 v3, -1, v3
	v_cmp_eq_u32_e64 s[2:3], 0, v3
	v_add_u32_e32 v8, 16, v8
	s_or_b64 s[38:39], s[2:3], s[38:39]
	s_waitcnt lgkmcnt(0)
	v_add_u32_e32 v5, v11, v5
	v_add_u32_e32 v4, v10, v4
	;; [unrolled: 1-line block ×4, first 2 shown]
	s_andn2_b64 exec, exec, s[38:39]
	s_cbranch_execnz .LBB4_11
; %bb.12:
	s_or_b64 exec, exec, s[38:39]
.LBB4_13:
	s_or_b64 exec, exec, s[36:37]
	v_and_b32_e32 v3, 0xfc, v0
	v_add_u32_e32 v5, v7, v5
	v_cmp_ne_u32_e64 s[2:3], v0, v3
	v_add3_u32 v4, v6, v4, v5
	s_orn2_b64 s[36:37], s[2:3], exec
.LBB4_14:
	s_or_b64 exec, exec, s[34:35]
	s_and_saveexec_b64 s[34:35], s[36:37]
	s_cbranch_execz .LBB4_18
; %bb.15:
	v_sub_u32_e32 v5, v0, v3
	v_lshlrev_b32_e32 v3, 2, v3
	s_mov_b64 s[36:37], 0
.LBB4_16:                               ; =>This Inner Loop Header: Depth=1
	ds_read_b32 v6, v3
	v_add_u32_e32 v5, -1, v5
	v_cmp_eq_u32_e64 s[2:3], 0, v5
	v_add_u32_e32 v3, 4, v3
	s_or_b64 s[36:37], s[2:3], s[36:37]
	s_waitcnt lgkmcnt(0)
	v_add_u32_e32 v4, v6, v4
	s_andn2_b64 exec, exec, s[36:37]
	s_cbranch_execnz .LBB4_16
; %bb.17:
	s_or_b64 exec, exec, s[36:37]
.LBB4_18:
	s_or_b64 exec, exec, s[34:35]
.LBB4_19:
	s_or_b64 exec, exec, s[8:9]
	s_mul_i32 s2, s7, s23
	s_mul_hi_u32 s3, s7, s22
	s_add_i32 s2, s3, s2
	s_mul_i32 s3, s50, s22
	s_add_i32 s49, s2, s3
	s_mul_i32 s2, s29, 5
	;; [unrolled: 2-line block ×3, first 2 shown]
	s_ashr_i32 s3, s2, 31
	s_mul_i32 s48, s7, s22
	s_lshl_b64 s[22:23], s[2:3], 2
	s_add_u32 s8, s24, s22
	s_addc_u32 s9, s25, s23
	s_lshl_b64 s[34:35], s[14:15], 2
	s_add_u32 s46, s8, s34
	s_addc_u32 s47, s9, s35
	s_lshl_b32 s36, s29, 1
	s_ashr_i32 s37, s36, 31
	s_lshl_b64 s[40:41], s[36:37], 2
	s_add_u32 s2, s46, s40
	s_load_dwordx2 s[38:39], s[4:5], 0x58
	v_ashrrev_i32_e32 v5, 31, v4
	s_addc_u32 s3, s47, s41
	v_lshlrev_b64 v[12:13], 2, v[4:5]
	v_mov_b32_e32 v3, s3
	v_add_co_u32_e64 v15, s[2:3], s2, v12
	v_addc_co_u32_e64 v16, s[2:3], v3, v13, s[2:3]
	v_cmp_lt_i32_e64 s[2:3], 0, v14
	s_and_saveexec_b64 s[4:5], s[2:3]
	s_cbranch_execz .LBB4_25
; %bb.20:
	v_add_co_u32_e64 v5, s[2:3], 8, v15
	v_addc_co_u32_e64 v17, s[2:3], 0, v16, s[2:3]
	s_add_i32 s2, s6, 2
	s_mul_i32 s2, s7, s2
	s_ashr_i32 s3, s2, 31
	s_lshl_b64 s[2:3], s[2:3], 2
	s_add_u32 s2, s26, s2
	s_addc_u32 s3, s27, s3
	v_mov_b32_e32 v2, s3
	v_add_co_u32_e64 v3, s[2:3], s2, v12
	v_addc_co_u32_e64 v2, s[2:3], v2, v13, s[2:3]
	v_add_co_u32_e64 v6, s[2:3], 12, v3
	v_addc_co_u32_e64 v7, s[2:3], 0, v2, s[2:3]
	s_mul_i32 s2, s18, s50
	s_mul_hi_u32 s3, s18, s7
	s_add_i32 s2, s3, s2
	s_mul_i32 s3, s19, s7
	s_add_i32 s3, s2, s3
	s_mul_i32 s2, s18, s7
	s_lshl_b64 s[2:3], s[2:3], 2
	s_add_u32 s2, s16, s2
	s_addc_u32 s3, s17, s3
	v_mov_b32_e32 v2, s3
	v_add_co_u32_e64 v8, s[2:3], s2, v12
	v_addc_co_u32_e64 v9, s[2:3], v2, v13, s[2:3]
	s_lshl_b64 s[2:3], s[42:43], 2
	s_add_u32 s2, s12, s2
	s_addc_u32 s3, s13, s3
	v_mov_b32_e32 v2, s3
	v_add_co_u32_e64 v10, s[2:3], s2, v12
	v_addc_co_u32_e64 v11, s[2:3], v2, v13, s[2:3]
	s_lshl_b64 s[2:3], s[48:49], 2
	s_add_u32 s2, s20, s2
	s_addc_u32 s3, s21, s3
	v_mov_b32_e32 v2, s3
	v_add_co_u32_e64 v12, s[2:3], s2, v12
	v_addc_co_u32_e64 v13, s[2:3], v2, v13, s[2:3]
	s_mov_b64 s[16:17], 0
	v_mov_b32_e32 v2, 0
	s_waitcnt lgkmcnt(0)
	v_mov_b32_e32 v18, s39
	s_branch .LBB4_22
.LBB4_21:                               ;   in Loop: Header=BB4_22 Depth=1
	s_or_b64 exec, exec, s[18:19]
	global_store_dword v[6:7], v19, off
	global_store_dword v[12:13], v3, off
	v_add_co_u32_e64 v6, s[2:3], 4, v6
	v_addc_co_u32_e64 v7, s[2:3], 0, v7, s[2:3]
	v_add_co_u32_e64 v8, s[2:3], 4, v8
	v_addc_co_u32_e64 v9, s[2:3], 0, v9, s[2:3]
	v_add_co_u32_e64 v10, s[2:3], 4, v10
	v_add_u32_e32 v14, -1, v14
	v_addc_co_u32_e64 v11, s[2:3], 0, v11, s[2:3]
	v_cmp_eq_u32_e64 s[2:3], 0, v14
	s_or_b64 s[16:17], s[2:3], s[16:17]
	v_add_co_u32_e64 v12, s[2:3], 4, v12
	v_add_u32_e32 v4, 1, v4
	v_addc_co_u32_e64 v13, s[2:3], 0, v13, s[2:3]
	s_andn2_b64 exec, exec, s[16:17]
	s_cbranch_execz .LBB4_24
.LBB4_22:                               ; =>This Inner Loop Header: Depth=1
	global_load_dword v3, v[8:9], off
	global_load_dwordx2 v[20:21], v[10:11], off
	s_waitcnt vmcnt(1)
	v_mul_f32_e32 v19, v3, v3
	s_waitcnt vmcnt(0)
	v_mul_f32_e32 v20, v20, v21
	v_mul_f32_e64 v20, |v20|, s38
	v_fma_f32 v20, s38, v20, v18
	v_cmp_gt_f32_e64 s[2:3], v20, v19
	s_and_saveexec_b64 s[18:19], s[2:3]
	s_cbranch_execz .LBB4_21
; %bb.23:                               ;   in Loop: Header=BB4_22 Depth=1
	v_ashrrev_i32_e32 v3, 31, v2
	v_add_u32_e32 v20, 1, v2
	v_lshlrev_b64 v[2:3], 2, v[2:3]
	v_add_co_u32_e64 v2, s[2:3], v5, v2
	v_addc_co_u32_e64 v3, s[2:3], v17, v3, s[2:3]
	global_store_dword v[2:3], v4, off
	v_mov_b32_e32 v19, 0
	v_mov_b32_e32 v3, 0
	;; [unrolled: 1-line block ×3, first 2 shown]
	s_branch .LBB4_21
.LBB4_24:
	s_or_b64 exec, exec, s[16:17]
.LBB4_25:
	s_or_b64 exec, exec, s[4:5]
	v_mov_b32_e32 v4, 1
	ds_write_b32 v1, v2
	s_waitcnt lgkmcnt(0)
	s_barrier
	s_and_saveexec_b64 s[2:3], vcc
	s_cbranch_execz .LBB4_41
; %bb.26:
	v_cmp_lt_u32_e32 vcc, 3, v0
	s_mov_b64 s[16:17], -1
	v_mov_b32_e32 v4, 1
	v_mov_b32_e32 v3, 0
	s_and_saveexec_b64 s[4:5], vcc
	s_cbranch_execz .LBB4_36
; %bb.27:
	v_add_u32_e32 v4, -4, v0
	s_mov_b32 s17, 0
	v_lshrrev_b32_e32 v3, 2, v4
	s_mov_b32 s16, 1
	s_mov_b32 s18, s17
	;; [unrolled: 1-line block ×3, first 2 shown]
	v_add_u32_e32 v3, 1, v3
	v_cmp_lt_u32_e32 vcc, 27, v4
	v_pk_mov_b32 v[6:7], s[18:19], s[18:19] op_sel:[0,1]
	v_pk_mov_b32 v[4:5], s[16:17], s[16:17] op_sel:[0,1]
	v_mov_b32_e32 v9, 0
	s_and_saveexec_b64 s[18:19], vcc
	s_cbranch_execz .LBB4_31
; %bb.28:
	v_and_b32_e32 v8, 0x7ffffff8, v3
	s_mov_b32 s16, 0
	s_mov_b64 s[50:51], 0
	v_mov_b32_e32 v5, 0
	v_mov_b32_e32 v4, 1
	;; [unrolled: 1-line block ×4, first 2 shown]
.LBB4_29:                               ; =>This Inner Loop Header: Depth=1
	v_mov_b32_e32 v9, s17
	ds_read_b128 v[10:13], v9
	ds_read_b128 v[18:21], v9 offset:16
	ds_read_b128 v[22:25], v9 offset:32
	ds_read_b128 v[26:29], v9 offset:48
	ds_read_b128 v[30:33], v9 offset:64
	ds_read_b128 v[34:37], v9 offset:80
	ds_read_b128 v[38:41], v9 offset:96
	ds_read_b128 v[42:45], v9 offset:112
	s_waitcnt lgkmcnt(7)
	v_add_u32_e32 v4, v10, v4
	v_add_u32_e32 v5, v11, v5
	v_add_u32_e32 v6, v12, v6
	v_add_u32_e32 v7, v13, v7
	s_waitcnt lgkmcnt(6)
	v_add_u32_e32 v5, v19, v5
	v_add_u32_e32 v4, v18, v4
	v_add_u32_e32 v7, v21, v7
	v_add_u32_e32 v6, v20, v6
	;; [unrolled: 5-line block ×5, first 2 shown]
	v_add_u32_e32 v8, -8, v8
	s_waitcnt lgkmcnt(2)
	v_add_u32_e32 v5, v35, v5
	v_add_u32_e32 v4, v34, v4
	;; [unrolled: 1-line block ×4, first 2 shown]
	s_add_i32 s16, s16, 32
	s_addk_i32 s17, 0x80
	v_cmp_eq_u32_e32 vcc, 0, v8
	s_waitcnt lgkmcnt(1)
	v_add_u32_e32 v4, v38, v4
	v_add_u32_e32 v5, v39, v5
	;; [unrolled: 1-line block ×4, first 2 shown]
	v_mov_b32_e32 v9, s16
	s_or_b64 s[50:51], vcc, s[50:51]
	s_waitcnt lgkmcnt(0)
	v_add_u32_e32 v5, v43, v5
	v_add_u32_e32 v4, v42, v4
	;; [unrolled: 1-line block ×4, first 2 shown]
	s_andn2_b64 exec, exec, s[50:51]
	s_cbranch_execnz .LBB4_29
; %bb.30:
	s_or_b64 exec, exec, s[50:51]
.LBB4_31:
	s_or_b64 exec, exec, s[18:19]
	v_and_b32_e32 v3, 7, v3
	v_cmp_ne_u32_e32 vcc, 0, v3
	s_and_saveexec_b64 s[16:17], vcc
	s_cbranch_execz .LBB4_35
; %bb.32:
	v_lshlrev_b32_e32 v8, 2, v9
	s_mov_b64 s[18:19], 0
.LBB4_33:                               ; =>This Inner Loop Header: Depth=1
	ds_read_b128 v[10:13], v8
	v_add_u32_e32 v3, -1, v3
	v_cmp_eq_u32_e32 vcc, 0, v3
	v_add_u32_e32 v8, 16, v8
	s_or_b64 s[18:19], vcc, s[18:19]
	s_waitcnt lgkmcnt(0)
	v_add_u32_e32 v5, v11, v5
	v_add_u32_e32 v4, v10, v4
	;; [unrolled: 1-line block ×4, first 2 shown]
	s_andn2_b64 exec, exec, s[18:19]
	s_cbranch_execnz .LBB4_33
; %bb.34:
	s_or_b64 exec, exec, s[18:19]
.LBB4_35:
	s_or_b64 exec, exec, s[16:17]
	v_and_b32_e32 v3, 0xfc, v0
	v_add_u32_e32 v5, v7, v5
	v_cmp_ne_u32_e32 vcc, v0, v3
	v_add3_u32 v4, v6, v4, v5
	s_orn2_b64 s[16:17], vcc, exec
.LBB4_36:
	s_or_b64 exec, exec, s[4:5]
	s_and_saveexec_b64 s[4:5], s[16:17]
	s_cbranch_execz .LBB4_40
; %bb.37:
	v_sub_u32_e32 v5, v0, v3
	v_lshlrev_b32_e32 v3, 2, v3
	s_mov_b64 s[16:17], 0
.LBB4_38:                               ; =>This Inner Loop Header: Depth=1
	ds_read_b32 v6, v3
	v_add_u32_e32 v5, -1, v5
	v_cmp_eq_u32_e32 vcc, 0, v5
	v_add_u32_e32 v3, 4, v3
	s_or_b64 s[16:17], vcc, s[16:17]
	s_waitcnt lgkmcnt(0)
	v_add_u32_e32 v4, v6, v4
	s_andn2_b64 exec, exec, s[16:17]
	s_cbranch_execnz .LBB4_38
; %bb.39:
	s_or_b64 exec, exec, s[16:17]
.LBB4_40:
	s_or_b64 exec, exec, s[4:5]
.LBB4_41:
	s_or_b64 exec, exec, s[2:3]
	v_cmp_lt_i32_e32 vcc, 0, v2
	s_and_saveexec_b64 s[2:3], vcc
	s_cbranch_execz .LBB4_44
; %bb.42:
	v_add_co_u32_e32 v6, vcc, 8, v15
	v_ashrrev_i32_e32 v5, 31, v4
	s_add_u32 s4, s24, s22
	v_addc_co_u32_e32 v7, vcc, 0, v16, vcc
	v_lshlrev_b64 v[8:9], 2, v[4:5]
	s_addc_u32 s5, s25, s23
	v_mov_b32_e32 v3, s5
	v_add_co_u32_e32 v8, vcc, s4, v8
	v_addc_co_u32_e32 v9, vcc, v3, v9, vcc
	s_mov_b64 s[4:5], 0
	v_mov_b32_e32 v3, v2
.LBB4_43:                               ; =>This Inner Loop Header: Depth=1
	global_load_dword v5, v[6:7], off
	v_add_co_u32_e32 v6, vcc, 4, v6
	v_add_u32_e32 v3, -1, v3
	v_addc_co_u32_e32 v7, vcc, 0, v7, vcc
	v_cmp_eq_u32_e32 vcc, 0, v3
	s_or_b64 s[4:5], vcc, s[4:5]
	s_waitcnt vmcnt(0)
	v_add_u32_e32 v5, 1, v5
	global_store_dword v[8:9], v5, off
	v_add_co_u32_e32 v8, vcc, 4, v8
	v_addc_co_u32_e32 v9, vcc, 0, v9, vcc
	s_andn2_b64 exec, exec, s[4:5]
	s_cbranch_execnz .LBB4_43
.LBB4_44:
	s_or_b64 exec, exec, s[2:3]
	s_movk_i32 s2, 0xff
	v_cmp_eq_u32_e64 s[2:3], s2, v0
	s_and_saveexec_b64 s[4:5], s[2:3]
	s_cbranch_execz .LBB4_46
; %bb.45:
	v_add_u32_e32 v2, v4, v2
	v_ashrrev_i32_e32 v3, 31, v2
	v_lshlrev_b64 v[4:5], 2, v[2:3]
	v_mov_b32_e32 v3, s9
	v_add_co_u32_e32 v4, vcc, s8, v4
	v_addc_co_u32_e32 v5, vcc, v3, v5, vcc
	v_mov_b32_e32 v3, s29
	global_store_dword v[4:5], v3, off
	v_mov_b32_e32 v3, 0
	global_store_dword v3, v3, s[8:9]
	global_store_dword v3, v2, s[46:47] offset:4
.LBB4_46:
	s_or_b64 exec, exec, s[4:5]
	v_cmp_gt_i32_e32 vcc, s33, v0
	v_bfrev_b32_e32 v5, -2
	v_mov_b32_e32 v4, 0
	s_barrier
	s_and_saveexec_b64 s[8:9], vcc
	s_cbranch_execz .LBB4_50
; %bb.47:
	s_add_i32 s4, s6, 2
	s_mul_i32 s4, s7, s4
	s_ashr_i32 s5, s4, 31
	s_lshl_b64 s[4:5], s[4:5], 2
	s_add_u32 s4, s26, s4
	s_addc_u32 s5, s27, s5
	v_mov_b32_e32 v2, s5
	v_add_co_u32_e32 v3, vcc, s4, v1
	v_addc_co_u32_e32 v5, vcc, 0, v2, vcc
	v_add_co_u32_e32 v2, vcc, 12, v3
	v_mov_b32_e32 v4, 0
	v_addc_co_u32_e32 v3, vcc, 0, v5, vcc
	s_mov_b64 s[16:17], 0
	v_bfrev_b32_e32 v5, -2
	s_brev_b32 s18, -2
	v_mov_b32_e32 v6, v0
.LBB4_48:                               ; =>This Inner Loop Header: Depth=1
	global_load_dword v7, v[2:3], off
	v_add_co_u32_e32 v2, vcc, 0x400, v2
	v_cmp_eq_u32_e64 s[4:5], s18, v5
	v_add_u32_e32 v8, 1, v6
	v_add_u32_e32 v6, 0x100, v6
	v_addc_co_u32_e32 v3, vcc, 0, v3, vcc
	v_cmp_le_i32_e32 vcc, s33, v6
	s_waitcnt vmcnt(0)
	v_cmp_lt_f32_e64 s[50:51], v4, |v7|
	s_or_b64 s[4:5], s[50:51], s[4:5]
	v_cndmask_b32_e64 v4, v4, |v7|, s[4:5]
	s_or_b64 s[16:17], vcc, s[16:17]
	v_cndmask_b32_e64 v5, v5, v8, s[4:5]
	s_andn2_b64 exec, exec, s[16:17]
	s_cbranch_execnz .LBB4_48
; %bb.49:
	s_or_b64 exec, exec, s[16:17]
.LBB4_50:
	s_or_b64 exec, exec, s[8:9]
	s_cmp_lt_i32 s29, 3
	ds_write_b32 v1, v4 offset:1024
	ds_write_b32 v1, v5
	s_waitcnt lgkmcnt(0)
	s_barrier
	s_cbranch_scc1 .LBB4_85
; %bb.51:
	s_movk_i32 s4, 0x80
	v_or_b32_e32 v2, 0x400, v1
	v_cmp_gt_u32_e32 vcc, s4, v0
	s_and_saveexec_b64 s[8:9], vcc
	s_cbranch_execz .LBB4_57
; %bb.52:
	ds_read_b32 v3, v2 offset:512
	ds_read_b32 v6, v1 offset:512
	s_waitcnt lgkmcnt(1)
	v_cmp_lt_f32_e64 s[16:17], v4, v3
	v_cmp_nlt_f32_e32 vcc, v4, v3
	s_and_saveexec_b64 s[18:19], vcc
	s_cbranch_execz .LBB4_54
; %bb.53:
	v_cmp_eq_f32_e32 vcc, v4, v3
	s_waitcnt lgkmcnt(0)
	v_cmp_gt_i32_e64 s[4:5], v5, v6
	s_and_b64 s[4:5], vcc, s[4:5]
	s_andn2_b64 s[16:17], s[16:17], exec
	s_and_b64 s[4:5], s[4:5], exec
	s_or_b64 s[16:17], s[16:17], s[4:5]
.LBB4_54:
	s_or_b64 exec, exec, s[18:19]
	s_and_saveexec_b64 s[4:5], s[16:17]
	s_cbranch_execz .LBB4_56
; %bb.55:
	s_waitcnt lgkmcnt(0)
	v_mov_b32_e32 v5, v6
	v_mov_b32_e32 v4, v3
	ds_write_b32 v2, v3
	ds_write_b32 v1, v6
.LBB4_56:
	s_or_b64 exec, exec, s[4:5]
.LBB4_57:
	s_or_b64 exec, exec, s[8:9]
	v_cmp_gt_u32_e32 vcc, 64, v0
	s_waitcnt lgkmcnt(0)
	s_barrier
	s_and_saveexec_b64 s[16:17], vcc
	s_cbranch_execz .LBB4_84
; %bb.58:
	ds_read_b32 v3, v2 offset:256
	ds_read_b32 v6, v1 offset:256
	s_waitcnt lgkmcnt(1)
	v_cmp_lt_f32_e64 s[8:9], v4, v3
	v_cmp_nlt_f32_e32 vcc, v4, v3
	s_and_saveexec_b64 s[18:19], vcc
	s_cbranch_execz .LBB4_60
; %bb.59:
	v_cmp_eq_f32_e32 vcc, v4, v3
	s_waitcnt lgkmcnt(0)
	v_cmp_gt_i32_e64 s[4:5], v5, v6
	s_and_b64 s[4:5], vcc, s[4:5]
	s_andn2_b64 s[8:9], s[8:9], exec
	s_and_b64 s[4:5], s[4:5], exec
	s_or_b64 s[8:9], s[8:9], s[4:5]
.LBB4_60:
	s_or_b64 exec, exec, s[18:19]
	s_and_saveexec_b64 s[4:5], s[8:9]
	s_cbranch_execz .LBB4_62
; %bb.61:
	v_mov_b32_e32 v4, v3
	s_waitcnt lgkmcnt(0)
	v_mov_b32_e32 v5, v6
	ds_write_b32 v2, v3
	ds_write_b32 v1, v6
.LBB4_62:
	s_or_b64 exec, exec, s[4:5]
	ds_read_b32 v3, v2 offset:128
	s_waitcnt lgkmcnt(1)
	ds_read_b32 v6, v1 offset:128
	s_waitcnt lgkmcnt(1)
	v_cmp_lt_f32_e64 s[8:9], v4, v3
	v_cmp_nlt_f32_e32 vcc, v4, v3
	s_and_saveexec_b64 s[18:19], vcc
	s_cbranch_execz .LBB4_64
; %bb.63:
	v_cmp_eq_f32_e32 vcc, v4, v3
	s_waitcnt lgkmcnt(0)
	v_cmp_gt_i32_e64 s[4:5], v5, v6
	s_and_b64 s[4:5], vcc, s[4:5]
	s_andn2_b64 s[8:9], s[8:9], exec
	s_and_b64 s[4:5], s[4:5], exec
	s_or_b64 s[8:9], s[8:9], s[4:5]
.LBB4_64:
	s_or_b64 exec, exec, s[18:19]
	s_and_saveexec_b64 s[4:5], s[8:9]
	s_cbranch_execz .LBB4_66
; %bb.65:
	v_mov_b32_e32 v4, v3
	s_waitcnt lgkmcnt(0)
	v_mov_b32_e32 v5, v6
	ds_write_b32 v2, v3
	ds_write_b32 v1, v6
.LBB4_66:
	s_or_b64 exec, exec, s[4:5]
	ds_read_b32 v3, v2 offset:64
	s_waitcnt lgkmcnt(1)
	;; [unrolled: 28-line block ×6, first 2 shown]
	ds_read_b32 v6, v1 offset:4
	s_waitcnt lgkmcnt(1)
	v_cmp_eq_f32_e64 s[4:5], v4, v3
	s_waitcnt lgkmcnt(0)
	v_cmp_gt_i32_e64 s[8:9], v5, v6
	v_cmp_lt_f32_e32 vcc, v4, v3
	s_and_b64 s[4:5], s[4:5], s[8:9]
	s_or_b64 s[4:5], vcc, s[4:5]
	s_and_b64 exec, exec, s[4:5]
	s_cbranch_execz .LBB4_84
; %bb.83:
	ds_write_b32 v2, v3
	ds_write_b32 v1, v6
.LBB4_84:
	s_or_b64 exec, exec, s[16:17]
.LBB4_85:
	v_mov_b32_e32 v1, 0
	s_waitcnt lgkmcnt(0)
	s_barrier
	ds_read_b32 v1, v1 offset:1024
	s_or_b32 s4, s6, 2
	s_mul_i32 s4, s4, s7
	s_ashr_i32 s5, s4, 31
	s_lshl_b64 s[4:5], s[4:5], 2
	s_waitcnt lgkmcnt(0)
	v_mul_f32_e32 v1, s39, v1
	s_add_u32 s16, s26, s4
	v_mov_b32_e32 v2, s39
	v_cmp_gt_f32_e32 vcc, s39, v1
	s_addc_u32 s17, s27, s5
	v_cndmask_b32_e32 v2, v1, v2, vcc
	s_andn2_b64 vcc, exec, s[44:45]
	v_mov_b32_e32 v5, s31
	v_mov_b32_e32 v4, s30
	s_cbranch_vccz .LBB4_88
; %bb.86:
	s_and_saveexec_b64 s[2:3], s[0:1]
	s_cbranch_execnz .LBB4_138
.LBB4_87:
	s_endpgm
.LBB4_88:
	s_add_u32 s4, s16, s34
	s_addc_u32 s5, s17, s35
	s_add_u32 s4, s4, s34
	s_addc_u32 s5, s5, s35
	;; [unrolled: 2-line block ×4, first 2 shown]
	s_lshl_b64 s[4:5], s[48:49], 2
	s_add_u32 s48, s20, s4
	s_addc_u32 s49, s21, s5
	s_lshl_b64 s[20:21], s[42:43], 2
	s_add_u32 s42, s12, s20
	s_addc_u32 s43, s13, s21
	v_mov_b32_e32 v5, s31
	v_mov_b32_e32 v4, s30
	s_and_saveexec_b64 s[8:9], s[0:1]
	s_cbranch_execz .LBB4_96
; %bb.89:
	v_mov_b32_e32 v5, 0
	global_load_dword v1, v5, s[42:43]
	global_load_dword v3, v5, s[48:49]
	s_cmp_gt_i32 s29, 1
	s_cselect_b64 s[30:31], -1, 0
	s_cmp_lt_i32 s29, 2
	s_waitcnt vmcnt(0)
	v_sub_f32_e64 v4, v1, |v3|
	v_sub_f32_e32 v7, v1, v4
	v_cmp_le_f32_e32 vcc, v7, v2
	v_cndmask_b32_e64 v6, 0, 1, vcc
	s_cbranch_scc1 .LBB4_92
; %bb.90:
	v_cmp_gt_f32_e64 s[4:5], v7, -v2
	s_and_b64 s[4:5], vcc, s[4:5]
	v_cndmask_b32_e64 v7, v7, -v2, s[4:5]
	s_add_i32 s4, s6, 2
	s_mul_i32 s4, s7, s4
	s_ashr_i32 s5, s4, 31
	s_lshl_b64 s[4:5], s[4:5], 2
	s_add_u32 s4, s4, s26
	s_addc_u32 s5, s5, s27
	s_add_u32 s50, s4, 12
	s_addc_u32 s51, s5, 0
	;; [unrolled: 2-line block ×4, first 2 shown]
	s_mov_b32 s37, s33
.LBB4_91:                               ; =>This Inner Loop Header: Depth=1
	global_load_dword v8, v5, s[52:53]
	global_load_dword v9, v5, s[50:51]
	s_add_i32 s37, s37, -1
	s_waitcnt vmcnt(1)
	v_sub_f32_e32 v8, v8, v4
	s_waitcnt vmcnt(0)
	v_div_scale_f32 v10, s[4:5], v7, v7, v9
	v_rcp_f32_e32 v12, v10
	v_div_scale_f32 v11, vcc, v9, v7, v9
	v_fma_f32 v13, -v10, v12, 1.0
	v_fmac_f32_e32 v12, v13, v12
	v_mul_f32_e32 v13, v11, v12
	v_fma_f32 v14, -v10, v13, v11
	v_fmac_f32_e32 v13, v14, v12
	v_fma_f32 v10, -v10, v13, v11
	v_div_fmas_f32 v10, v10, v12, v13
	v_div_fixup_f32 v7, v10, v7, v9
	v_sub_f32_e32 v7, v8, v7
	v_cmp_le_f32_e32 vcc, v7, v2
	v_cmp_gt_f32_e64 s[54:55], v7, -v2
	v_addc_co_u32_e64 v6, s[4:5], 0, v6, vcc
	s_and_b64 s[4:5], vcc, s[54:55]
	s_add_u32 s50, s50, 4
	s_addc_u32 s51, s51, 0
	s_add_u32 s52, s52, 4
	s_addc_u32 s53, s53, 0
	s_cmp_lg_u32 s37, 0
	v_cndmask_b32_e64 v7, v7, -v2, s[4:5]
	s_cbranch_scc1 .LBB4_91
.LBB4_92:
	v_and_b32_e32 v3, 0x7fffffff, v3
	v_add_f32_e32 v5, v1, v3
	v_sub_f32_e32 v1, v1, v5
	v_cmp_le_f32_e64 s[4:5], v1, v2
	s_andn2_b64 vcc, exec, s[30:31]
	v_cndmask_b32_e64 v7, 0, 1, s[4:5]
	s_cbranch_vccnz .LBB4_95
; %bb.93:
	v_cmp_gt_f32_e64 s[30:31], v1, -v2
	s_and_b64 s[4:5], s[4:5], s[30:31]
	v_cndmask_b32_e64 v1, v1, -v2, s[4:5]
	s_add_i32 s4, s6, 2
	s_mul_i32 s4, s7, s4
	s_ashr_i32 s5, s4, 31
	s_lshl_b64 s[4:5], s[4:5], 2
	s_add_u32 s4, s4, s26
	s_addc_u32 s5, s5, s27
	s_add_u32 s30, s4, 12
	s_addc_u32 s31, s5, 0
	;; [unrolled: 2-line block ×4, first 2 shown]
	v_mov_b32_e32 v3, 0
	s_mov_b32 s37, s33
.LBB4_94:                               ; =>This Inner Loop Header: Depth=1
	global_load_dword v8, v3, s[50:51]
	global_load_dword v9, v3, s[30:31]
	s_add_i32 s37, s37, -1
	s_waitcnt vmcnt(1)
	v_sub_f32_e32 v8, v8, v5
	s_waitcnt vmcnt(0)
	v_div_scale_f32 v10, s[4:5], v1, v1, v9
	v_rcp_f32_e32 v12, v10
	v_div_scale_f32 v11, vcc, v9, v1, v9
	v_fma_f32 v13, -v10, v12, 1.0
	v_fmac_f32_e32 v12, v13, v12
	v_mul_f32_e32 v13, v11, v12
	v_fma_f32 v14, -v10, v13, v11
	v_fmac_f32_e32 v13, v14, v12
	v_fma_f32 v10, -v10, v13, v11
	v_div_fmas_f32 v10, v10, v12, v13
	v_div_fixup_f32 v1, v10, v1, v9
	v_sub_f32_e32 v1, v8, v1
	v_cmp_le_f32_e32 vcc, v1, v2
	v_cmp_gt_f32_e64 s[52:53], v1, -v2
	v_addc_co_u32_e64 v7, s[4:5], 0, v7, vcc
	s_and_b64 s[4:5], vcc, s[52:53]
	s_add_u32 s30, s30, 4
	s_addc_u32 s31, s31, 0
	s_add_u32 s50, s50, 4
	s_addc_u32 s51, s51, 0
	s_cmp_lg_u32 s37, 0
	v_cndmask_b32_e64 v1, v1, -v2, s[4:5]
	s_cbranch_scc1 .LBB4_94
.LBB4_95:
	v_mov_b32_e32 v1, 0
	global_store_dwordx2 v1, v[4:5], s[44:45]
	global_store_dwordx2 v1, v[6:7], s[46:47] offset:8
.LBB4_96:
	s_or_b64 exec, exec, s[8:9]
	s_add_u32 s37, s46, 8
	v_add_u32_e32 v0, 1, v0
	s_addc_u32 s39, s47, 0
	v_cmp_gt_i32_e32 vcc, s33, v0
	s_and_saveexec_b64 s[30:31], vcc
	s_cbranch_execz .LBB4_106
; %bb.97:
	s_cmp_gt_i32 s29, 1
	s_cselect_b64 s[4:5], -1, 0
	s_add_u32 s58, s48, -4
	s_addc_u32 s54, s49, -1
	s_add_u32 s59, s44, 4
	s_addc_u32 s55, s45, 0
	s_add_i32 s8, s6, 2
	s_mul_i32 s8, s7, s8
	s_ashr_i32 s9, s8, 31
	s_lshl_b64 s[8:9], s[8:9], 2
	s_add_u32 s8, s8, s26
	s_addc_u32 s9, s9, s27
	s_add_u32 s46, s8, 12
	s_addc_u32 s47, s9, 0
	;; [unrolled: 2-line block ×3, first 2 shown]
	s_add_u32 s50, s8, 4
	v_cndmask_b32_e64 v4, 0, 1, s[4:5]
	s_addc_u32 s51, s9, 0
	s_mov_b64 s[52:53], 0
	v_mov_b32_e32 v1, 0
	v_mov_b32_e32 v3, s43
	;; [unrolled: 1-line block ×3, first 2 shown]
	v_cmp_ne_u32_e64 s[4:5], 1, v4
	v_mov_b32_e32 v9, s45
	v_mov_b32_e32 v10, s39
	;; [unrolled: 1-line block ×3, first 2 shown]
	s_branch .LBB4_99
.LBB4_98:                               ;   in Loop: Header=BB4_99 Depth=1
	v_lshlrev_b32_e32 v12, 1, v0
	v_mov_b32_e32 v13, v1
	v_lshlrev_b64 v[12:13], 2, v[12:13]
	v_add_co_u32_e32 v14, vcc, s44, v12
	v_addc_co_u32_e32 v15, vcc, v9, v13, vcc
	global_store_dword v[14:15], v4, off
	v_add_co_u32_e32 v14, vcc, s37, v12
	v_addc_co_u32_e32 v15, vcc, v10, v13, vcc
	v_add_co_u32_e32 v12, vcc, s59, v12
	v_addc_co_u32_e32 v13, vcc, v11, v13, vcc
	v_add_u32_e32 v0, 0x100, v0
	v_cmp_le_i32_e32 vcc, s33, v0
	s_or_b64 s[52:53], vcc, s[52:53]
	global_store_dword v[12:13], v5, off
	global_store_dwordx2 v[14:15], v[6:7], off
	s_andn2_b64 exec, exec, s[52:53]
	s_cbranch_execz .LBB4_105
.LBB4_99:                               ; =>This Loop Header: Depth=1
                                        ;     Child Loop BB4_101 Depth 2
                                        ;     Child Loop BB4_104 Depth 2
	v_lshlrev_b64 v[4:5], 2, v[0:1]
	v_add_co_u32_e32 v6, vcc, s42, v4
	v_addc_co_u32_e32 v7, vcc, v3, v5, vcc
	v_add_co_u32_e32 v4, vcc, s58, v4
	v_addc_co_u32_e32 v5, vcc, v8, v5, vcc
	global_load_dwordx2 v[12:13], v[4:5], off
	s_nop 0
	global_load_dword v5, v[6:7], off
	s_nop 0
	global_load_dword v7, v1, s[42:43]
	s_and_b64 vcc, exec, s[4:5]
	s_waitcnt vmcnt(2)
	v_add_f32_e64 v12, |v13|, |v12|
	s_waitcnt vmcnt(1)
	v_sub_f32_e32 v4, v5, v12
	s_waitcnt vmcnt(0)
	v_sub_f32_e32 v13, v7, v4
	v_cmp_le_f32_e64 s[8:9], v13, v2
	v_cndmask_b32_e64 v6, 0, 1, s[8:9]
	s_cbranch_vccnz .LBB4_102
; %bb.100:                              ;   in Loop: Header=BB4_99 Depth=1
	v_cmp_gt_f32_e64 s[54:55], v13, -v2
	s_and_b64 s[8:9], s[8:9], s[54:55]
	v_cndmask_b32_e64 v13, v13, -v2, s[8:9]
	s_mov_b64 s[54:55], s[50:51]
	s_mov_b64 s[56:57], s[46:47]
	s_mov_b32 s60, s33
.LBB4_101:                              ;   Parent Loop BB4_99 Depth=1
                                        ; =>  This Inner Loop Header: Depth=2
	global_load_dword v14, v1, s[54:55]
	global_load_dword v15, v1, s[56:57]
	s_add_i32 s60, s60, -1
	s_waitcnt vmcnt(1)
	v_sub_f32_e32 v14, v14, v4
	s_waitcnt vmcnt(0)
	v_div_scale_f32 v16, s[8:9], v13, v13, v15
	v_rcp_f32_e32 v18, v16
	v_div_scale_f32 v17, vcc, v15, v13, v15
	v_fma_f32 v19, -v16, v18, 1.0
	v_fmac_f32_e32 v18, v19, v18
	v_mul_f32_e32 v19, v17, v18
	v_fma_f32 v20, -v16, v19, v17
	v_fmac_f32_e32 v19, v20, v18
	v_fma_f32 v16, -v16, v19, v17
	v_div_fmas_f32 v16, v16, v18, v19
	v_div_fixup_f32 v13, v16, v13, v15
	v_sub_f32_e32 v13, v14, v13
	v_cmp_le_f32_e32 vcc, v13, v2
	v_cmp_gt_f32_e64 s[62:63], v13, -v2
	v_addc_co_u32_e64 v6, s[8:9], 0, v6, vcc
	s_and_b64 s[8:9], vcc, s[62:63]
	s_add_u32 s56, s56, 4
	s_addc_u32 s57, s57, 0
	s_add_u32 s54, s54, 4
	s_addc_u32 s55, s55, 0
	s_cmp_lg_u32 s60, 0
	v_cndmask_b32_e64 v13, v13, -v2, s[8:9]
	s_cbranch_scc1 .LBB4_101
.LBB4_102:                              ;   in Loop: Header=BB4_99 Depth=1
	v_add_f32_e32 v5, v5, v12
	v_sub_f32_e32 v12, v7, v5
	v_cmp_le_f32_e64 s[8:9], v12, v2
	s_and_b64 vcc, exec, s[4:5]
	v_cndmask_b32_e64 v7, 0, 1, s[8:9]
	s_cbranch_vccnz .LBB4_98
; %bb.103:                              ;   in Loop: Header=BB4_99 Depth=1
	v_cmp_gt_f32_e64 s[54:55], v12, -v2
	s_and_b64 s[8:9], s[8:9], s[54:55]
	v_cndmask_b32_e64 v12, v12, -v2, s[8:9]
	s_mov_b64 s[54:55], s[50:51]
	s_mov_b64 s[56:57], s[46:47]
	s_mov_b32 s60, s33
.LBB4_104:                              ;   Parent Loop BB4_99 Depth=1
                                        ; =>  This Inner Loop Header: Depth=2
	global_load_dword v13, v1, s[54:55]
	global_load_dword v14, v1, s[56:57]
	s_add_i32 s60, s60, -1
	s_waitcnt vmcnt(1)
	v_sub_f32_e32 v13, v13, v5
	s_waitcnt vmcnt(0)
	v_div_scale_f32 v15, s[8:9], v12, v12, v14
	v_rcp_f32_e32 v17, v15
	v_div_scale_f32 v16, vcc, v14, v12, v14
	v_fma_f32 v18, -v15, v17, 1.0
	v_fmac_f32_e32 v17, v18, v17
	v_mul_f32_e32 v18, v16, v17
	v_fma_f32 v19, -v15, v18, v16
	v_fmac_f32_e32 v18, v19, v17
	v_fma_f32 v15, -v15, v18, v16
	v_div_fmas_f32 v15, v15, v17, v18
	v_div_fixup_f32 v12, v15, v12, v14
	v_sub_f32_e32 v12, v13, v12
	v_cmp_le_f32_e32 vcc, v12, v2
	v_cmp_gt_f32_e64 s[62:63], v12, -v2
	v_addc_co_u32_e64 v7, s[8:9], 0, v7, vcc
	s_and_b64 s[8:9], vcc, s[62:63]
	s_add_u32 s56, s56, 4
	s_addc_u32 s57, s57, 0
	s_add_u32 s54, s54, 4
	s_addc_u32 s55, s55, 0
	s_cmp_lg_u32 s60, 0
	v_cndmask_b32_e64 v12, v12, -v2, s[8:9]
	s_cbranch_scc1 .LBB4_104
	s_branch .LBB4_98
.LBB4_105:
	s_or_b64 exec, exec, s[52:53]
.LBB4_106:
	s_or_b64 exec, exec, s[30:31]
	s_and_saveexec_b64 s[4:5], s[2:3]
	s_cbranch_execz .LBB4_114
; %bb.107:
	s_add_u32 s2, s42, s34
	s_addc_u32 s3, s43, s35
	s_add_u32 s8, s48, s34
	v_mov_b32_e32 v6, 0
	s_addc_u32 s9, s49, s35
	global_load_dword v5, v6, s[8:9] offset:-8
	global_load_dword v1, v6, s[2:3] offset:-4
	global_load_dword v3, v6, s[42:43]
	s_cmp_gt_i32 s29, 1
	s_cselect_b64 s[8:9], -1, 0
	s_cmp_lt_i32 s29, 2
	s_waitcnt vmcnt(1)
	v_sub_f32_e64 v4, v1, |v5|
	s_waitcnt vmcnt(0)
	v_sub_f32_e32 v7, v3, v4
	v_cmp_le_f32_e32 vcc, v7, v2
	v_cndmask_b32_e64 v0, 0, 1, vcc
	s_cbranch_scc1 .LBB4_110
; %bb.108:
	v_cmp_gt_f32_e64 s[2:3], v7, -v2
	s_and_b64 s[2:3], vcc, s[2:3]
	v_cndmask_b32_e64 v7, v7, -v2, s[2:3]
	s_add_i32 s2, s6, 2
	s_mul_i32 s2, s7, s2
	s_ashr_i32 s3, s2, 31
	s_lshl_b64 s[2:3], s[2:3], 2
	s_add_u32 s2, s2, s26
	s_addc_u32 s3, s3, s27
	s_add_u32 s30, s2, 12
	s_addc_u32 s31, s3, 0
	;; [unrolled: 2-line block ×4, first 2 shown]
	s_mov_b32 s46, s33
.LBB4_109:                              ; =>This Inner Loop Header: Depth=1
	global_load_dword v8, v6, s[42:43]
	global_load_dword v9, v6, s[30:31]
	s_add_i32 s46, s46, -1
	s_waitcnt vmcnt(1)
	v_sub_f32_e32 v8, v8, v4
	s_waitcnt vmcnt(0)
	v_div_scale_f32 v10, s[2:3], v7, v7, v9
	v_rcp_f32_e32 v12, v10
	v_div_scale_f32 v11, vcc, v9, v7, v9
	v_fma_f32 v13, -v10, v12, 1.0
	v_fmac_f32_e32 v12, v13, v12
	v_mul_f32_e32 v13, v11, v12
	v_fma_f32 v14, -v10, v13, v11
	v_fmac_f32_e32 v13, v14, v12
	v_fma_f32 v10, -v10, v13, v11
	v_div_fmas_f32 v10, v10, v12, v13
	v_div_fixup_f32 v7, v10, v7, v9
	v_sub_f32_e32 v7, v8, v7
	v_cmp_le_f32_e32 vcc, v7, v2
	v_cmp_gt_f32_e64 s[48:49], v7, -v2
	v_addc_co_u32_e64 v0, s[2:3], 0, v0, vcc
	s_and_b64 s[2:3], vcc, s[48:49]
	s_add_u32 s30, s30, 4
	s_addc_u32 s31, s31, 0
	s_add_u32 s42, s42, 4
	s_addc_u32 s43, s43, 0
	s_cmp_lg_u32 s46, 0
	v_cndmask_b32_e64 v7, v7, -v2, s[2:3]
	s_cbranch_scc1 .LBB4_109
.LBB4_110:
	v_and_b32_e32 v5, 0x7fffffff, v5
	v_add_f32_e32 v5, v1, v5
	v_sub_f32_e32 v3, v3, v5
	v_cmp_le_f32_e64 s[2:3], v3, v2
	s_andn2_b64 vcc, exec, s[8:9]
	v_cndmask_b32_e64 v1, 0, 1, s[2:3]
	s_cbranch_vccnz .LBB4_113
; %bb.111:
	v_cmp_gt_f32_e64 s[8:9], v3, -v2
	s_and_b64 s[2:3], s[2:3], s[8:9]
	v_cndmask_b32_e64 v3, v3, -v2, s[2:3]
	s_add_i32 s2, s6, 2
	s_mul_i32 s2, s7, s2
	s_ashr_i32 s3, s2, 31
	s_lshl_b64 s[2:3], s[2:3], 2
	s_add_u32 s2, s2, s26
	s_addc_u32 s3, s3, s27
	s_add_u32 s8, s2, 12
	s_addc_u32 s9, s3, 0
	s_add_u32 s2, s12, s20
	s_addc_u32 s3, s13, s21
	s_add_u32 s12, s2, 4
	s_addc_u32 s13, s3, 0
	v_mov_b32_e32 v6, 0
.LBB4_112:                              ; =>This Inner Loop Header: Depth=1
	global_load_dword v7, v6, s[12:13]
	global_load_dword v8, v6, s[8:9]
	s_add_i32 s33, s33, -1
	s_waitcnt vmcnt(1)
	v_sub_f32_e32 v7, v7, v5
	s_waitcnt vmcnt(0)
	v_div_scale_f32 v9, s[2:3], v3, v3, v8
	v_rcp_f32_e32 v11, v9
	v_div_scale_f32 v10, vcc, v8, v3, v8
	v_fma_f32 v12, -v9, v11, 1.0
	v_fmac_f32_e32 v11, v12, v11
	v_mul_f32_e32 v12, v10, v11
	v_fma_f32 v13, -v9, v12, v10
	v_fmac_f32_e32 v12, v13, v11
	v_fma_f32 v9, -v9, v12, v10
	v_div_fmas_f32 v9, v9, v11, v12
	v_div_fixup_f32 v3, v9, v3, v8
	v_sub_f32_e32 v3, v7, v3
	v_cmp_le_f32_e32 vcc, v3, v2
	v_cmp_gt_f32_e64 s[20:21], v3, -v2
	v_addc_co_u32_e64 v1, s[2:3], 0, v1, vcc
	s_and_b64 s[2:3], vcc, s[20:21]
	s_add_u32 s8, s8, 4
	s_addc_u32 s9, s9, 0
	s_add_u32 s12, s12, 4
	s_addc_u32 s13, s13, 0
	s_cmp_lg_u32 s33, 0
	v_cndmask_b32_e64 v3, v3, -v2, s[2:3]
	s_cbranch_scc1 .LBB4_112
.LBB4_113:
	s_add_u32 s2, s44, s40
	s_addc_u32 s3, s45, s41
	v_mov_b32_e32 v3, 0
	s_add_u32 s8, s37, s40
	s_addc_u32 s9, s39, s41
	global_store_dwordx2 v3, v[4:5], s[2:3] offset:-8
	global_store_dwordx2 v3, v[0:1], s[8:9] offset:-8
.LBB4_114:
	s_or_b64 exec, exec, s[4:5]
	s_barrier
	s_and_saveexec_b64 s[8:9], s[0:1]
	s_cbranch_execz .LBB4_137
; %bb.115:
	s_cmp_gt_i32 s29, 0
	s_cselect_b64 s[4:5], -1, 0
	s_cmp_lt_i32 s29, 1
	s_mov_b32 s2, 1
	s_cbranch_scc1 .LBB4_122
; %bb.116:
	s_add_u32 s30, s44, -4
	s_addc_u32 s31, s45, -1
	s_add_u32 s33, s37, -4
	s_addc_u32 s42, s39, -1
	s_add_i32 s6, s6, 2
	s_mul_i32 s6, s7, s6
	s_ashr_i32 s7, s6, 31
	s_lshl_b64 s[12:13], s[14:15], 3
	s_lshl_b64 s[6:7], s[6:7], 2
	s_add_u32 s3, s12, s6
	s_addc_u32 s6, s13, s7
	s_add_u32 s3, s3, s26
	s_addc_u32 s7, s6, s27
	;; [unrolled: 2-line block ×3, first 2 shown]
	v_mov_b32_e32 v0, 0
	s_branch .LBB4_118
.LBB4_117:                              ;   in Loop: Header=BB4_118 Depth=1
	s_add_i32 s2, s2, 1
	s_add_u32 s6, s6, 4
	s_addc_u32 s7, s7, 0
	s_cmp_lg_u32 s2, s36
	s_cbranch_scc0 .LBB4_122
.LBB4_118:                              ; =>This Loop Header: Depth=1
                                        ;     Child Loop BB4_119 Depth 2
	s_ashr_i32 s3, s2, 31
	s_add_i32 s21, s2, -1
	s_lshl_b64 s[14:15], s[2:3], 2
	s_add_u32 s12, s30, s14
	s_addc_u32 s13, s31, s15
	global_load_dword v1, v0, s[12:13]
	s_mov_b64 s[26:27], s[6:7]
	s_mov_b32 s3, s2
	s_mov_b32 s20, s21
	s_waitcnt vmcnt(0)
	v_mov_b32_e32 v3, v1
.LBB4_119:                              ;   Parent Loop BB4_118 Depth=1
                                        ; =>  This Inner Loop Header: Depth=2
	global_load_dword v4, v0, s[26:27]
	s_waitcnt vmcnt(0)
	v_cmp_lt_f32_e32 vcc, v4, v3
	s_and_b64 s[46:47], vcc, exec
	s_cselect_b32 s20, s3, s20
	s_add_i32 s3, s3, 1
	s_add_u32 s26, s26, 4
	s_addc_u32 s27, s27, 0
	v_cndmask_b32_e32 v3, v3, v4, vcc
	s_cmp_ge_i32 s3, s36
	s_cbranch_scc0 .LBB4_119
; %bb.120:                              ;   in Loop: Header=BB4_118 Depth=1
	s_cmp_lg_u32 s20, s21
	s_cbranch_scc0 .LBB4_117
; %bb.121:                              ;   in Loop: Header=BB4_118 Depth=1
	s_ashr_i32 s21, s20, 31
	s_lshl_b64 s[20:21], s[20:21], 2
	s_add_u32 s26, s44, s20
	s_addc_u32 s27, s45, s21
	s_add_u32 s20, s37, s20
	s_addc_u32 s21, s39, s21
	;; [unrolled: 2-line block ×3, first 2 shown]
	global_load_dword v4, v0, s[14:15]
	global_load_dword v5, v0, s[20:21]
	s_nop 0
	global_store_dword v0, v1, s[26:27]
	global_store_dword v0, v3, s[12:13]
	s_waitcnt vmcnt(3)
	global_store_dword v0, v4, s[20:21]
	s_waitcnt vmcnt(3)
	global_store_dword v0, v5, s[14:15]
	s_branch .LBB4_117
.LBB4_122:
	v_mov_b32_e32 v0, 0
	s_add_u32 s6, s18, s40
	s_addc_u32 s7, s19, s41
	global_load_dword v1, v0, s[18:19] offset:-4
	global_load_dword v3, v0, s[6:7] offset:-8
	v_cvt_f32_i32_e32 v4, s29
	v_cndmask_b32_e64 v5, 0, 1, s[4:5]
	s_andn2_b64 vcc, exec, s[4:5]
	v_cmp_ne_u32_e64 s[2:3], 1, v5
	s_waitcnt vmcnt(0)
	v_cmp_lt_f32_e64 s[4:5], |v1|, |v3|
	v_cndmask_b32_e64 v5, v1, v3, s[4:5]
	v_mul_f32_e64 v5, |v5|, s38
	v_fma_f32 v1, -v5, v4, v1
	v_fmac_f32_e32 v3, v5, v4
	v_sub_f32_e32 v1, v1, v2
	v_add_f32_e32 v3, v2, v3
	global_store_dword v0, v1, s[18:19] offset:-4
	global_store_dword v0, v3, s[6:7] offset:-8
	s_cbranch_vccnz .LBB4_128
; %bb.123:
	s_max_i32 s7, s36, 2
	s_add_i32 s7, s7, -1
	s_add_u32 s4, s34, s22
	s_addc_u32 s5, s35, s23
	s_add_u32 s4, s4, s24
	s_addc_u32 s5, s5, s25
	;; [unrolled: 2-line block ×3, first 2 shown]
	s_mov_b32 s14, 0
	s_branch .LBB4_125
.LBB4_124:                              ;   in Loop: Header=BB4_125 Depth=1
	s_add_i32 s14, s14, 1
	s_add_u32 s4, s4, 4
	s_addc_u32 s5, s5, 0
	s_cmp_eq_u32 s7, s14
	s_cselect_b64 s[12:13], -1, 0
	s_mov_b32 s6, s7
	s_andn2_b64 vcc, exec, s[12:13]
	s_cbranch_vccz .LBB4_127
.LBB4_125:                              ; =>This Inner Loop Header: Depth=1
	global_load_dword v1, v0, s[4:5]
	s_mov_b64 s[12:13], -1
	s_waitcnt vmcnt(0)
	v_cmp_le_i32_e32 vcc, s10, v1
	s_cbranch_vccz .LBB4_124
; %bb.126:                              ;   in Loop: Header=BB4_125 Depth=1
                                        ; implicit-def: $sgpr4_sgpr5
	s_mov_b32 s6, s14
	s_andn2_b64 vcc, exec, s[12:13]
	s_cbranch_vccnz .LBB4_125
.LBB4_127:
	s_mov_b32 s7, 0
	s_branch .LBB4_129
.LBB4_128:
	s_mov_b64 s[6:7], 0
.LBB4_129:
	s_lshl_b64 s[4:5], s[6:7], 2
	s_add_u32 s4, s18, s4
	s_addc_u32 s5, s19, s5
	v_mov_b32_e32 v0, 0
	global_load_dword v4, v0, s[4:5] offset:-4
	s_and_b64 vcc, exec, s[2:3]
	s_mov_b32 s5, 1
	s_cbranch_vccnz .LBB4_135
; %bb.130:
	s_max_i32 s10, s36, 2
	s_add_i32 s12, s10, -1
	s_add_u32 s2, s34, s22
	s_addc_u32 s3, s35, s23
	s_add_u32 s2, s2, s24
	s_addc_u32 s3, s3, s25
	;; [unrolled: 2-line block ×3, first 2 shown]
	s_branch .LBB4_132
.LBB4_131:                              ;   in Loop: Header=BB4_132 Depth=1
	s_mov_b32 s4, s5
                                        ; implicit-def: $sgpr2_sgpr3
	s_andn2_b64 vcc, exec, s[6:7]
	s_cbranch_vccz .LBB4_134
.LBB4_132:                              ; =>This Inner Loop Header: Depth=1
	global_load_dword v1, v0, s[2:3]
	s_mov_b64 s[6:7], -1
	s_waitcnt vmcnt(0)
	v_cmp_gt_i32_e32 vcc, s11, v1
	s_cbranch_vccz .LBB4_131
; %bb.133:                              ;   in Loop: Header=BB4_132 Depth=1
	s_add_i32 s5, s5, 1
	s_add_u32 s2, s2, 4
	s_addc_u32 s3, s3, 0
	s_cmp_eq_u32 s10, s5
	s_cselect_b64 s[6:7], -1, 0
	s_mov_b32 s4, s12
	s_andn2_b64 vcc, exec, s[6:7]
	s_cbranch_vccnz .LBB4_132
.LBB4_134:
	s_ashr_i32 s5, s4, 31
	s_branch .LBB4_136
.LBB4_135:
	s_mov_b64 s[4:5], 0
.LBB4_136:
	s_lshl_b64 s[2:3], s[4:5], 2
	s_add_u32 s2, s18, s2
	s_addc_u32 s3, s19, s3
	v_mov_b32_e32 v0, 0
	global_load_dword v5, v0, s[2:3] offset:-4
.LBB4_137:
	s_or_b64 exec, exec, s[8:9]
	s_and_saveexec_b64 s[2:3], s[0:1]
	s_cbranch_execz .LBB4_87
.LBB4_138:
	s_cmpk_eq_i32 s28, 0xe7
	s_cselect_b64 s[0:1], -1, 0
	s_waitcnt vmcnt(0)
	v_cndmask_b32_e64 v1, v5, 0, s[0:1]
	v_cndmask_b32_e64 v0, v4, 0, s[0:1]
	v_mov_b32_e32 v3, 0
	global_store_dwordx3 v3, v[0:2], s[16:17]
	s_endpgm
	.section	.rodata,"a",@progbits
	.p2align	6, 0x0
	.amdhsa_kernel _ZN9rocsolver6v33100L19stedcx_split_kernelIfEEv15rocblas_erange_iT_S3_iiPS3_lS4_lS4_lPiS4_S3_S3_
		.amdhsa_group_segment_fixed_size 2048
		.amdhsa_private_segment_fixed_size 0
		.amdhsa_kernarg_size 352
		.amdhsa_user_sgpr_count 6
		.amdhsa_user_sgpr_private_segment_buffer 1
		.amdhsa_user_sgpr_dispatch_ptr 0
		.amdhsa_user_sgpr_queue_ptr 0
		.amdhsa_user_sgpr_kernarg_segment_ptr 1
		.amdhsa_user_sgpr_dispatch_id 0
		.amdhsa_user_sgpr_flat_scratch_init 0
		.amdhsa_user_sgpr_kernarg_preload_length 0
		.amdhsa_user_sgpr_kernarg_preload_offset 0
		.amdhsa_user_sgpr_private_segment_size 0
		.amdhsa_uses_dynamic_stack 0
		.amdhsa_system_sgpr_private_segment_wavefront_offset 0
		.amdhsa_system_sgpr_workgroup_id_x 1
		.amdhsa_system_sgpr_workgroup_id_y 1
		.amdhsa_system_sgpr_workgroup_id_z 0
		.amdhsa_system_sgpr_workgroup_info 0
		.amdhsa_system_vgpr_workitem_id 0
		.amdhsa_next_free_vgpr 46
		.amdhsa_next_free_sgpr 64
		.amdhsa_accum_offset 48
		.amdhsa_reserve_vcc 1
		.amdhsa_reserve_flat_scratch 0
		.amdhsa_float_round_mode_32 0
		.amdhsa_float_round_mode_16_64 0
		.amdhsa_float_denorm_mode_32 3
		.amdhsa_float_denorm_mode_16_64 3
		.amdhsa_dx10_clamp 1
		.amdhsa_ieee_mode 1
		.amdhsa_fp16_overflow 0
		.amdhsa_tg_split 0
		.amdhsa_exception_fp_ieee_invalid_op 0
		.amdhsa_exception_fp_denorm_src 0
		.amdhsa_exception_fp_ieee_div_zero 0
		.amdhsa_exception_fp_ieee_overflow 0
		.amdhsa_exception_fp_ieee_underflow 0
		.amdhsa_exception_fp_ieee_inexact 0
		.amdhsa_exception_int_div_zero 0
	.end_amdhsa_kernel
	.section	.text._ZN9rocsolver6v33100L19stedcx_split_kernelIfEEv15rocblas_erange_iT_S3_iiPS3_lS4_lS4_lPiS4_S3_S3_,"axG",@progbits,_ZN9rocsolver6v33100L19stedcx_split_kernelIfEEv15rocblas_erange_iT_S3_iiPS3_lS4_lS4_lPiS4_S3_S3_,comdat
.Lfunc_end4:
	.size	_ZN9rocsolver6v33100L19stedcx_split_kernelIfEEv15rocblas_erange_iT_S3_iiPS3_lS4_lS4_lPiS4_S3_S3_, .Lfunc_end4-_ZN9rocsolver6v33100L19stedcx_split_kernelIfEEv15rocblas_erange_iT_S3_iiPS3_lS4_lS4_lPiS4_S3_S3_
                                        ; -- End function
	.section	.AMDGPU.csdata,"",@progbits
; Kernel info:
; codeLenInByte = 6540
; NumSgprs: 68
; NumVgprs: 46
; NumAgprs: 0
; TotalNumVgprs: 46
; ScratchSize: 0
; MemoryBound: 0
; FloatMode: 240
; IeeeMode: 1
; LDSByteSize: 2048 bytes/workgroup (compile time only)
; SGPRBlocks: 8
; VGPRBlocks: 5
; NumSGPRsForWavesPerEU: 68
; NumVGPRsForWavesPerEU: 46
; AccumOffset: 48
; Occupancy: 8
; WaveLimiterHint : 0
; COMPUTE_PGM_RSRC2:SCRATCH_EN: 0
; COMPUTE_PGM_RSRC2:USER_SGPR: 6
; COMPUTE_PGM_RSRC2:TRAP_HANDLER: 0
; COMPUTE_PGM_RSRC2:TGID_X_EN: 1
; COMPUTE_PGM_RSRC2:TGID_Y_EN: 1
; COMPUTE_PGM_RSRC2:TGID_Z_EN: 0
; COMPUTE_PGM_RSRC2:TIDIG_COMP_CNT: 0
; COMPUTE_PGM_RSRC3_GFX90A:ACCUM_OFFSET: 11
; COMPUTE_PGM_RSRC3_GFX90A:TG_SPLIT: 0
	.section	.text._ZN9rocsolver6v33100L20stedcx_divide_kernelIfEEviPT_lS3_lPi,"axG",@progbits,_ZN9rocsolver6v33100L20stedcx_divide_kernelIfEEviPT_lS3_lPi,comdat
	.globl	_ZN9rocsolver6v33100L20stedcx_divide_kernelIfEEviPT_lS3_lPi ; -- Begin function _ZN9rocsolver6v33100L20stedcx_divide_kernelIfEEviPT_lS3_lPi
	.p2align	8
	.type	_ZN9rocsolver6v33100L20stedcx_divide_kernelIfEEviPT_lS3_lPi,@function
_ZN9rocsolver6v33100L20stedcx_divide_kernelIfEEviPT_lS3_lPi: ; @_ZN9rocsolver6v33100L20stedcx_divide_kernelIfEEviPT_lS3_lPi
; %bb.0:
	s_load_dword s8, s[4:5], 0x0
	s_load_dwordx2 s[0:1], s[4:5], 0x28
	s_waitcnt lgkmcnt(0)
	s_mul_i32 s2, s8, 5
	s_add_i32 s2, s2, 2
	s_mul_i32 s2, s2, s6
	s_ashr_i32 s3, s2, 31
	s_ashr_i32 s9, s8, 31
	s_lshl_b64 s[10:11], s[2:3], 2
	s_add_u32 s14, s0, s10
	s_addc_u32 s7, s1, s11
	s_lshl_b64 s[12:13], s[8:9], 2
	s_add_u32 s2, s14, s12
	s_addc_u32 s3, s7, s13
	s_load_dword s15, s[2:3], 0x4
	s_waitcnt lgkmcnt(0)
	v_cmp_gt_i32_e32 vcc, s15, v0
	s_and_saveexec_b64 s[16:17], vcc
	s_cbranch_execz .LBB5_19
; %bb.1:
	s_load_dwordx8 s[16:23], s[4:5], 0x8
	s_ashr_i32 s24, s6, 31
	v_mov_b32_e32 v1, 0
	v_mov_b32_e32 v10, s7
	s_movk_i32 s26, 0x79b
	s_waitcnt lgkmcnt(0)
	s_mul_i32 s5, s6, s19
	s_mul_hi_u32 s19, s6, s18
	s_mul_i32 s25, s24, s18
	s_add_i32 s5, s19, s5
	s_mul_i32 s4, s6, s18
	s_add_i32 s5, s5, s25
	s_lshl_b64 s[4:5], s[4:5], 2
	s_add_u32 s16, s16, s4
	s_addc_u32 s17, s17, s5
	s_mul_i32 s4, s6, s23
	s_mul_hi_u32 s5, s6, s22
	s_add_i32 s4, s5, s4
	s_mul_i32 s24, s24, s22
	s_add_i32 s5, s4, s24
	s_mul_i32 s4, s6, s22
	s_lshl_b64 s[4:5], s[4:5], 2
	s_add_u32 s4, s20, s4
	s_addc_u32 s5, s21, s5
	s_add_u32 s18, s2, s12
	s_addc_u32 s6, s3, s13
	s_add_u32 s19, s4, -4
	s_addc_u32 s20, s5, -1
	s_add_u32 s4, s12, s10
	s_addc_u32 s5, s13, s11
	s_add_u32 s4, s4, s0
	s_addc_u32 s5, s5, s1
	;; [unrolled: 2-line block ×3, first 2 shown]
	s_lshl_b64 s[4:5], s[8:9], 3
	s_add_u32 s4, s4, s10
	s_addc_u32 s5, s5, s11
	s_add_u32 s0, s4, s0
	s_addc_u32 s1, s5, s1
	;; [unrolled: 2-line block ×3, first 2 shown]
	s_mov_b64 s[4:5], 0
	s_movk_i32 s25, 0xe8
	s_movk_i32 s27, 0x128
	v_mov_b32_e32 v11, s3
	s_mov_b32 s7, 0
	v_mov_b32_e32 v12, s6
	s_branch .LBB5_3
.LBB5_2:                                ;   in Loop: Header=BB5_3 Depth=1
	s_or_b64 exec, exec, s[0:1]
	v_add_u32_e32 v0, 0x200, v0
	v_cmp_le_i32_e32 vcc, s15, v0
	s_or_b64 s[4:5], vcc, s[4:5]
	s_andn2_b64 exec, exec, s[4:5]
	s_cbranch_execz .LBB5_19
.LBB5_3:                                ; =>This Loop Header: Depth=1
                                        ;     Child Loop BB5_13 Depth 2
                                        ;       Child Loop BB5_14 Depth 3
                                        ;     Child Loop BB5_18 Depth 2
	v_lshlrev_b64 v[2:3], 2, v[0:1]
	v_add_co_u32_e32 v2, vcc, s14, v2
	v_addc_co_u32_e32 v3, vcc, v10, v3, vcc
	global_load_dwordx2 v[2:3], v[2:3], off
	v_mov_b32_e32 v13, 0
	s_waitcnt vmcnt(0)
	v_sub_u32_e32 v8, v3, v2
	v_cmp_lt_i32_e32 vcc, 2, v8
	s_and_saveexec_b64 s[0:1], vcc
	s_cbranch_execz .LBB5_11
; %bb.4:                                ;   in Loop: Header=BB5_3 Depth=1
	v_cmp_lt_u32_e32 vcc, 4, v8
	v_mov_b32_e32 v13, 1
	s_and_saveexec_b64 s[8:9], vcc
	s_cbranch_execz .LBB5_10
; %bb.5:                                ;   in Loop: Header=BB5_3 Depth=1
	v_cmp_lt_u32_e32 vcc, 32, v8
	v_mov_b32_e32 v13, 2
	;; [unrolled: 5-line block ×3, first 2 shown]
	s_and_saveexec_b64 s[12:13], vcc
; %bb.7:                                ;   in Loop: Header=BB5_3 Depth=1
	v_cmp_gt_u32_e32 vcc, s27, v8
	v_cndmask_b32_e64 v3, 7, 5, vcc
	v_cmp_gt_u32_e32 vcc, s26, v8
	v_cndmask_b32_e32 v13, 8, v3, vcc
; %bb.8:                                ;   in Loop: Header=BB5_3 Depth=1
	s_or_b64 exec, exec, s[12:13]
.LBB5_9:                                ;   in Loop: Header=BB5_3 Depth=1
	s_or_b64 exec, exec, s[10:11]
.LBB5_10:                               ;   in Loop: Header=BB5_3 Depth=1
	s_or_b64 exec, exec, s[8:9]
.LBB5_11:                               ;   in Loop: Header=BB5_3 Depth=1
	s_or_b64 exec, exec, s[0:1]
	v_ashrrev_i32_e32 v3, 31, v2
	v_lshlrev_b64 v[6:7], 2, v[2:3]
	v_add_co_u32_e32 v14, vcc, s2, v6
	v_addc_co_u32_e32 v15, vcc, v11, v7, vcc
	v_add_co_u32_e32 v4, vcc, 8, v14
	v_addc_co_u32_e32 v5, vcc, 0, v15, vcc
	v_cmp_ne_u32_e32 vcc, 0, v13
	global_store_dword v[14:15], v8, off offset:8
	s_and_saveexec_b64 s[8:9], vcc
	s_cbranch_execz .LBB5_16
; %bb.12:                               ;   in Loop: Header=BB5_3 Depth=1
	v_mov_b32_e32 v8, s22
	v_add_co_u32_e64 v3, s[0:1], s21, v6
	v_addc_co_u32_e64 v14, s[0:1], v8, v7, s[0:1]
	s_mov_b32 s3, 0
	s_mov_b64 s[10:11], 0
.LBB5_13:                               ;   Parent Loop BB5_3 Depth=1
                                        ; =>  This Loop Header: Depth=2
                                        ;       Child Loop BB5_14 Depth 3
	s_lshl_b32 s6, 1, s3
	s_lshl_b64 s[0:1], s[6:7], 2
	v_mov_b32_e32 v9, s1
	v_add_co_u32_e64 v8, s[0:1], s0, v3
	s_add_i32 s12, s6, 1
	v_addc_co_u32_e64 v9, s[0:1], v14, v9, s[0:1]
	s_lshl_b32 s6, s6, 1
.LBB5_14:                               ;   Parent Loop BB5_3 Depth=1
                                        ;     Parent Loop BB5_13 Depth=2
                                        ; =>    This Inner Loop Header: Depth=3
	global_load_dword v15, v[8:9], off
	v_add_co_u32_e64 v8, s[0:1], -4, v8
	s_lshl_b64 s[28:29], s[6:7], 2
	v_addc_co_u32_e64 v9, s[0:1], -1, v9, s[0:1]
	v_mov_b32_e32 v17, s29
	v_add_co_u32_e64 v16, s[0:1], s28, v4
	v_addc_co_u32_e64 v17, s[0:1], v5, v17, s[0:1]
	s_add_i32 s12, s12, -1
	s_add_i32 s6, s6, -2
	s_cmp_lt_i32 s12, 2
	s_waitcnt vmcnt(0)
	v_lshrrev_b32_e32 v18, 31, v15
	v_add_u32_e32 v19, v15, v18
	v_ashrrev_i32_e32 v18, 1, v19
	v_and_b32_e32 v19, -2, v19
	v_cmp_lt_i32_e64 s[0:1], v19, v15
	v_addc_co_u32_e64 v19, s[0:1], 0, v18, s[0:1]
	global_store_dwordx2 v[16:17], v[18:19], off offset:-8
	s_cbranch_scc0 .LBB5_14
; %bb.15:                               ;   in Loop: Header=BB5_13 Depth=2
	s_add_i32 s3, s3, 1
	v_cmp_eq_u32_e64 s[0:1], s3, v13
	s_or_b64 s[10:11], s[0:1], s[10:11]
	s_andn2_b64 exec, exec, s[10:11]
	s_cbranch_execnz .LBB5_13
.LBB5_16:                               ;   in Loop: Header=BB5_3 Depth=1
	s_or_b64 exec, exec, s[8:9]
	v_add_co_u32_e64 v8, s[0:1], s18, v6
	v_addc_co_u32_e64 v9, s[0:1], v12, v7, s[0:1]
	global_store_dword v[8:9], v2, off offset:8
	s_and_saveexec_b64 s[0:1], vcc
	s_cbranch_execz .LBB5_2
; %bb.17:                               ;   in Loop: Header=BB5_3 Depth=1
	v_mov_b32_e32 v3, s24
	v_add_co_u32_e32 v6, vcc, s23, v6
	s_mov_b32 s3, 2
	v_addc_co_u32_e32 v7, vcc, v3, v7, vcc
	s_mov_b64 s[8:9], 0
.LBB5_18:                               ;   Parent Loop BB5_3 Depth=1
                                        ; =>  This Inner Loop Header: Depth=2
	global_load_dword v3, v[4:5], off
	v_mov_b32_e32 v15, s20
	v_mov_b32_e32 v16, s17
	s_waitcnt vmcnt(0)
	v_add_u32_e32 v2, v3, v2
	v_ashrrev_i32_e32 v3, 31, v2
	v_lshlrev_b64 v[8:9], 2, v[2:3]
	v_add_co_u32_e32 v14, vcc, s19, v8
	v_addc_co_u32_e32 v15, vcc, v15, v9, vcc
	v_add_co_u32_e32 v8, vcc, s16, v8
	v_addc_co_u32_e32 v9, vcc, v16, v9, vcc
	global_load_dword v3, v[14:15], off
	global_load_dwordx2 v[16:17], v[8:9], off offset:-4
	v_add_co_u32_e32 v4, vcc, 4, v4
	v_lshrrev_b32_e64 v14, v13, s3
	v_addc_co_u32_e32 v5, vcc, 0, v5, vcc
	s_add_i32 s3, s3, 1
	v_cmp_ne_u32_e32 vcc, 0, v14
	s_or_b64 s[8:9], vcc, s[8:9]
	global_store_dword v[6:7], v2, off
	v_add_co_u32_e32 v6, vcc, 4, v6
	v_addc_co_u32_e32 v7, vcc, 0, v7, vcc
	s_waitcnt vmcnt(1)
	v_sub_f32_e32 v15, v17, v3
	v_sub_f32_e32 v14, v16, v3
	global_store_dwordx2 v[8:9], v[14:15], off offset:-4
	s_andn2_b64 exec, exec, s[8:9]
	s_cbranch_execnz .LBB5_18
	s_branch .LBB5_2
.LBB5_19:
	s_endpgm
	.section	.rodata,"a",@progbits
	.p2align	6, 0x0
	.amdhsa_kernel _ZN9rocsolver6v33100L20stedcx_divide_kernelIfEEviPT_lS3_lPi
		.amdhsa_group_segment_fixed_size 0
		.amdhsa_private_segment_fixed_size 0
		.amdhsa_kernarg_size 48
		.amdhsa_user_sgpr_count 6
		.amdhsa_user_sgpr_private_segment_buffer 1
		.amdhsa_user_sgpr_dispatch_ptr 0
		.amdhsa_user_sgpr_queue_ptr 0
		.amdhsa_user_sgpr_kernarg_segment_ptr 1
		.amdhsa_user_sgpr_dispatch_id 0
		.amdhsa_user_sgpr_flat_scratch_init 0
		.amdhsa_user_sgpr_kernarg_preload_length 0
		.amdhsa_user_sgpr_kernarg_preload_offset 0
		.amdhsa_user_sgpr_private_segment_size 0
		.amdhsa_uses_dynamic_stack 0
		.amdhsa_system_sgpr_private_segment_wavefront_offset 0
		.amdhsa_system_sgpr_workgroup_id_x 1
		.amdhsa_system_sgpr_workgroup_id_y 0
		.amdhsa_system_sgpr_workgroup_id_z 0
		.amdhsa_system_sgpr_workgroup_info 0
		.amdhsa_system_vgpr_workitem_id 0
		.amdhsa_next_free_vgpr 20
		.amdhsa_next_free_sgpr 30
		.amdhsa_accum_offset 20
		.amdhsa_reserve_vcc 1
		.amdhsa_reserve_flat_scratch 0
		.amdhsa_float_round_mode_32 0
		.amdhsa_float_round_mode_16_64 0
		.amdhsa_float_denorm_mode_32 3
		.amdhsa_float_denorm_mode_16_64 3
		.amdhsa_dx10_clamp 1
		.amdhsa_ieee_mode 1
		.amdhsa_fp16_overflow 0
		.amdhsa_tg_split 0
		.amdhsa_exception_fp_ieee_invalid_op 0
		.amdhsa_exception_fp_denorm_src 0
		.amdhsa_exception_fp_ieee_div_zero 0
		.amdhsa_exception_fp_ieee_overflow 0
		.amdhsa_exception_fp_ieee_underflow 0
		.amdhsa_exception_fp_ieee_inexact 0
		.amdhsa_exception_int_div_zero 0
	.end_amdhsa_kernel
	.section	.text._ZN9rocsolver6v33100L20stedcx_divide_kernelIfEEviPT_lS3_lPi,"axG",@progbits,_ZN9rocsolver6v33100L20stedcx_divide_kernelIfEEviPT_lS3_lPi,comdat
.Lfunc_end5:
	.size	_ZN9rocsolver6v33100L20stedcx_divide_kernelIfEEviPT_lS3_lPi, .Lfunc_end5-_ZN9rocsolver6v33100L20stedcx_divide_kernelIfEEviPT_lS3_lPi
                                        ; -- End function
	.section	.AMDGPU.csdata,"",@progbits
; Kernel info:
; codeLenInByte = 888
; NumSgprs: 34
; NumVgprs: 20
; NumAgprs: 0
; TotalNumVgprs: 20
; ScratchSize: 0
; MemoryBound: 0
; FloatMode: 240
; IeeeMode: 1
; LDSByteSize: 0 bytes/workgroup (compile time only)
; SGPRBlocks: 4
; VGPRBlocks: 2
; NumSGPRsForWavesPerEU: 34
; NumVGPRsForWavesPerEU: 20
; AccumOffset: 20
; Occupancy: 8
; WaveLimiterHint : 1
; COMPUTE_PGM_RSRC2:SCRATCH_EN: 0
; COMPUTE_PGM_RSRC2:USER_SGPR: 6
; COMPUTE_PGM_RSRC2:TRAP_HANDLER: 0
; COMPUTE_PGM_RSRC2:TGID_X_EN: 1
; COMPUTE_PGM_RSRC2:TGID_Y_EN: 0
; COMPUTE_PGM_RSRC2:TGID_Z_EN: 0
; COMPUTE_PGM_RSRC2:TIDIG_COMP_CNT: 0
; COMPUTE_PGM_RSRC3_GFX90A:ACCUM_OFFSET: 4
; COMPUTE_PGM_RSRC3_GFX90A:TG_SPLIT: 0
	.section	.text._ZN9rocsolver6v33100L19stedcx_solve_kernelIfEEviPT_lS3_lS3_iilPiS3_S4_S2_S2_S2_,"axG",@progbits,_ZN9rocsolver6v33100L19stedcx_solve_kernelIfEEviPT_lS3_lS3_iilPiS3_S4_S2_S2_S2_,comdat
	.globl	_ZN9rocsolver6v33100L19stedcx_solve_kernelIfEEviPT_lS3_lS3_iilPiS3_S4_S2_S2_S2_ ; -- Begin function _ZN9rocsolver6v33100L19stedcx_solve_kernelIfEEviPT_lS3_lS3_iilPiS3_S4_S2_S2_S2_
	.p2align	8
	.type	_ZN9rocsolver6v33100L19stedcx_solve_kernelIfEEviPT_lS3_lS3_iilPiS3_S4_S2_S2_S2_,@function
_ZN9rocsolver6v33100L19stedcx_solve_kernelIfEEviPT_lS3_lS3_iilPiS3_S4_S2_S2_S2_: ; @_ZN9rocsolver6v33100L19stedcx_solve_kernelIfEEviPT_lS3_lS3_iilPiS3_S4_S2_S2_S2_
; %bb.0:
	s_load_dwordx4 s[20:23], s[4:5], 0x28
	s_load_dwordx8 s[12:19], s[4:5], 0x38
	s_mov_b32 s24, s7
	s_mov_b64 s[0:1], 0
                                        ; implicit-def: $vgpr66 : SGPR spill to VGPR lane
	s_waitcnt lgkmcnt(0)
	s_cmp_lg_u64 s[20:21], 0
	s_cbranch_scc0 .LBB6_245
; %bb.1:
	s_ashr_i32 s9, s8, 31
	s_mul_i32 s7, s8, s13
	s_mul_hi_u32 s10, s8, s12
	s_add_i32 s7, s10, s7
	s_mul_i32 s10, s9, s12
	s_add_i32 s11, s7, s10
	s_mul_i32 s10, s8, s12
	s_ashr_i32 s3, s22, 31
	s_lshl_b64 s[10:11], s[10:11], 2
	s_mov_b32 s2, s22
	s_add_u32 s7, s20, s10
	s_addc_u32 s10, s21, s11
	s_lshl_b64 s[2:3], s[2:3], 2
	s_add_u32 s2, s7, s2
	s_addc_u32 s3, s10, s3
	v_writelane_b32 v66, s2, 0
	v_writelane_b32 v66, s3, 1
	s_andn2_b64 vcc, exec, s[0:1]
	s_cbranch_vccnz .LBB6_3
.LBB6_2:
	s_ashr_i32 s9, s8, 31
                                        ; implicit-def: $sgpr0_sgpr1
                                        ; kill: killed $sgpr0_sgpr1
.LBB6_3:
	s_load_dword s10, s[4:5], 0x0
	s_waitcnt lgkmcnt(0)
	s_mul_i32 s0, s10, 5
	s_add_i32 s0, s0, 2
	s_mul_i32 s0, s0, s8
	s_ashr_i32 s1, s0, 31
	s_lshl_b64 s[0:1], s[0:1], 2
	s_add_u32 s22, s18, s0
	s_addc_u32 s7, s19, s1
	s_ashr_i32 s11, s10, 31
	s_lshl_b64 s[2:3], s[10:11], 2
	s_add_u32 s0, s22, s2
	s_addc_u32 s1, s7, s3
	s_load_dword s11, s[0:1], 0x4
	s_waitcnt lgkmcnt(0)
	s_cmp_ge_i32 s24, s11
	v_writelane_b32 v66, s11, 2
	s_cbranch_scc1 .LBB6_244
; %bb.4:
	s_load_dwordx8 s[36:43], s[4:5], 0x8
	v_writelane_b32 v66, s7, 3
	v_readlane_b32 s20, v66, 3
	s_mov_b32 s26, s23
	v_lshlrev_b32_e32 v1, 2, v0
	s_waitcnt lgkmcnt(0)
	s_mul_i32 s7, s8, s39
	s_mul_hi_u32 s11, s8, s38
	s_mul_i32 s13, s9, s38
	s_add_i32 s7, s11, s7
	s_mul_i32 s12, s8, s38
	s_add_i32 s13, s7, s13
	s_lshl_b64 s[12:13], s[12:13], 2
	s_mul_i32 s18, s8, s43
	s_add_u32 s83, s36, s12
	s_mul_hi_u32 s7, s8, s42
	s_addc_u32 s84, s37, s13
	s_add_i32 s7, s7, s18
	s_mul_i32 s11, s9, s42
	s_add_i32 s13, s7, s11
	s_mul_i32 s12, s8, s42
	s_lshl_b64 s[12:13], s[12:13], 2
	s_add_u32 s85, s40, s12
	s_addc_u32 s86, s41, s13
	s_lshl_b64 s[12:13], s[8:9], 2
	s_add_u32 s18, s14, s12
	s_mul_i32 s7, s8, s10
	s_addc_u32 s19, s15, s13
	s_lshl_b32 s8, s7, 1
	s_load_dword s7, s[4:5], 0x74
	s_load_dwordx4 s[12:15], s[4:5], 0x58
	s_ashr_i32 s9, s8, 31
	s_lshl_b64 s[8:9], s[8:9], 2
	s_add_u32 s8, s16, s8
	s_addc_u32 s9, s17, s9
	s_waitcnt lgkmcnt(0)
	s_and_b32 s15, 0xffff, s7
	s_ashr_i32 s7, s6, 31
	s_lshl_b64 s[4:5], s[6:7], 2
	s_add_u32 s4, s0, s4
	s_addc_u32 s5, s1, s5
	s_ashr_i32 s27, s23, 31
	s_add_u32 s4, s4, 8
	s_addc_u32 s5, s5, 0
	v_writelane_b32 v66, s4, 4
	s_add_u32 s2, s4, s2
	v_writelane_b32 v66, s2, 5
	v_writelane_b32 v66, s5, 6
	s_addc_u32 s2, s5, s3
	s_lshl_b32 s92, s15, 2
	v_writelane_b32 v66, s2, 7
	s_add_u32 s2, s8, -8
	v_writelane_b32 v66, s2, 8
	s_addc_u32 s2, s9, -1
	v_writelane_b32 v66, s2, 9
	s_add_u32 s2, s85, -4
	v_writelane_b32 v66, s2, 10
	s_addc_u32 s2, s86, -1
	s_lshl_b64 s[28:29], s[26:27], 2
	v_writelane_b32 v66, s2, 11
	s_sub_u32 s94, 0, s28
	v_readlane_b32 s2, v66, 0
	s_subb_u32 s95, 0, s29
	v_add_co_u32_e32 v41, vcc, s2, v1
	s_add_u32 s2, s83, -4
	v_readlane_b32 s3, v66, 1
	v_writelane_b32 v66, s2, 12
	s_addc_u32 s2, s84, -1
	v_writelane_b32 v66, s2, 13
	v_mov_b32_e32 v2, s3
	v_writelane_b32 v66, s8, 14
	s_add_u32 s2, s8, -4
	v_addc_co_u32_e32 v42, vcc, 0, v2, vcc
	v_writelane_b32 v66, s2, 15
	s_mov_b32 s17, 0
	v_writelane_b32 v66, s9, 16
	s_addc_u32 s2, s9, -1
	v_mov_b32_e32 v2, s86
	v_add_co_u32_e32 v43, vcc, s85, v1
	v_cmp_eq_u32_e64 s[0:1], 0, v0
	v_mul_f32_e64 v40, s12, s12
	s_mov_b32 s93, s17
	v_writelane_b32 v66, s2, 17
	v_addc_co_u32_e32 v44, vcc, 0, v2, vcc
	v_mov_b32_e32 v3, 0
	s_mov_b32 s90, 0xf800000
	s_mov_b32 s91, 0x4f800000
	v_mov_b32_e32 v45, 0x260
                                        ; implicit-def: $vgpr8_vgpr9
                                        ; implicit-def: $vgpr10_vgpr11
                                        ; implicit-def: $vgpr12_vgpr13
                                        ; implicit-def: $vgpr4_vgpr5
                                        ; implicit-def: $vgpr46
                                        ; implicit-def: $vgpr6_vgpr7
                                        ; implicit-def: $vgpr49
                                        ; implicit-def: $vgpr14_vgpr15
                                        ; implicit-def: $vgpr16_vgpr17
	v_writelane_b32 v66, s22, 18
	s_branch .LBB6_7
.LBB6_5:                                ;   in Loop: Header=BB6_7 Depth=1
	s_or_b64 exec, exec, s[2:3]
	v_pk_mov_b32 v[16:17], v[24:25], v[24:25] op_sel:[0,1]
	v_pk_mov_b32 v[14:15], v[20:21], v[20:21] op_sel:[0,1]
	v_mov_b32_e32 v49, v19
	v_readlane_b32 s20, v66, 3
	s_barrier
.LBB6_6:                                ;   in Loop: Header=BB6_7 Depth=1
	s_add_i32 s24, s24, 8
	v_readlane_b32 s2, v66, 2
	s_cmp_ge_i32 s24, s2
	s_cbranch_scc1 .LBB6_244
.LBB6_7:                                ; =>This Loop Header: Depth=1
                                        ;     Child Loop BB6_24 Depth 2
                                        ;     Child Loop BB6_37 Depth 2
	;; [unrolled: 1-line block ×3, first 2 shown]
                                        ;       Child Loop BB6_47 Depth 3
                                        ;       Child Loop BB6_55 Depth 3
	;; [unrolled: 1-line block ×3, first 2 shown]
                                        ;         Child Loop BB6_70 Depth 4
                                        ;         Child Loop BB6_89 Depth 4
	;; [unrolled: 1-line block ×3, first 2 shown]
                                        ;           Child Loop BB6_136 Depth 5
                                        ;       Child Loop BB6_161 Depth 3
                                        ;         Child Loop BB6_169 Depth 4
                                        ;         Child Loop BB6_188 Depth 4
	;; [unrolled: 1-line block ×3, first 2 shown]
                                        ;           Child Loop BB6_235 Depth 5
                                        ;       Child Loop BB6_147 Depth 3
                                        ;       Child Loop BB6_154 Depth 3
                                        ;     Child Loop BB6_241 Depth 2
	s_ashr_i32 s25, s24, 31
	s_lshl_b64 s[2:3], s[24:25], 2
	s_add_u32 s2, s22, s2
	s_addc_u32 s3, s20, s3
	global_load_dwordx2 v[18:19], v3, s[2:3]
	s_waitcnt vmcnt(0)
	v_readfirstlane_b32 s2, v18
	v_readfirstlane_b32 s3, v19
	s_sub_i32 s25, s3, s2
	s_cmp_lt_i32 s25, 3
	s_mov_b32 s3, s17
	s_cbranch_scc1 .LBB6_12
; %bb.8:                                ;   in Loop: Header=BB6_7 Depth=1
	s_cmp_lt_u32 s25, 5
	s_mov_b32 s3, 1
	s_cbranch_scc1 .LBB6_12
; %bb.9:                                ;   in Loop: Header=BB6_7 Depth=1
	s_cmp_lt_u32 s25, 33
	s_mov_b32 s3, 2
	s_cbranch_scc1 .LBB6_12
; %bb.10:                               ;   in Loop: Header=BB6_7 Depth=1
	s_cmpk_lt_u32 s25, 0xe9
	s_mov_b32 s3, 4
	s_cbranch_scc1 .LBB6_12
; %bb.11:                               ;   in Loop: Header=BB6_7 Depth=1
	s_cmpk_lt_u32 s25, 0x128
	s_cselect_b32 s3, 5, 7
	s_cmpk_lt_u32 s25, 0x79b
	s_cselect_b32 s3, s3, 8
.LBB6_12:                               ;   in Loop: Header=BB6_7 Depth=1
	s_lshl_b32 s3, 1, s3
	s_cmp_ge_i32 s6, s3
	s_cbranch_scc1 .LBB6_6
; %bb.13:                               ;   in Loop: Header=BB6_7 Depth=1
	s_ashr_i32 s3, s2, 31
	s_lshl_b64 s[2:3], s[2:3], 2
	v_readlane_b32 s4, v66, 4
	s_add_u32 s4, s4, s2
	v_readlane_b32 s5, v66, 6
	s_addc_u32 s5, s5, s3
	v_readlane_b32 s7, v66, 5
	s_add_u32 s2, s7, s2
	v_readlane_b32 s7, v66, 7
	s_addc_u32 s3, s7, s3
	global_load_dword v1, v3, s[4:5]
	global_load_dword v2, v3, s[2:3]
	s_waitcnt vmcnt(1)
	v_readfirstlane_b32 s40, v1
	s_waitcnt vmcnt(0)
	v_readfirstlane_b32 s38, v2
	s_and_saveexec_b64 s[2:3], s[0:1]
	s_cbranch_execz .LBB6_15
; %bb.14:                               ;   in Loop: Header=BB6_7 Depth=1
	ds_write2_b32 v3, v3, v3 offset0:3 offset1:7
.LBB6_15:                               ;   in Loop: Header=BB6_7 Depth=1
	s_or_b64 exec, exec, s[2:3]
	s_waitcnt lgkmcnt(0)
	s_barrier
	ds_read2_b32 v[18:19], v3 offset0:3 offset1:7
	s_mul_i32 s25, s25, 30
	s_ashr_i32 s39, s38, 31
	s_add_i32 s36, s40, -1
	s_waitcnt lgkmcnt(0)
	v_cmp_gt_i32_e32 vcc, s40, v18
	v_cmp_gt_i32_e64 s[2:3], s25, v19
	s_and_b64 s[2:3], vcc, s[2:3]
	v_readfirstlane_b32 s10, v18
	s_andn2_b64 vcc, exec, s[2:3]
	s_cbranch_vccnz .LBB6_237
; %bb.16:                               ;   in Loop: Header=BB6_7 Depth=1
	s_lshl_b64 s[42:43], s[38:39], 2
	s_add_u32 s44, s83, s42
	s_addc_u32 s45, s84, s43
	s_add_u32 s7, s85, s42
	s_mul_i32 s2, s38, s23
	s_addc_u32 s89, s86, s43
	s_ashr_i32 s3, s2, 31
	s_lshl_b64 s[2:3], s[2:3], 2
	s_add_u32 s8, s42, s2
	s_addc_u32 s9, s43, s3
	v_readlane_b32 s2, v66, 0
	v_readlane_b32 s3, v66, 1
	s_add_u32 s87, s8, s2
	s_addc_u32 s88, s9, s3
	s_lshl_b32 s2, s38, 1
	s_ashr_i32 s3, s2, 31
	s_lshl_b64 s[4:5], s[2:3], 2
	v_readlane_b32 s33, v66, 14
	s_add_u32 s46, s33, s4
	v_readlane_b32 s37, v66, 16
	s_addc_u32 s47, s37, s5
	s_ashr_i32 s41, s40, 31
	s_add_u32 s20, s7, -4
	s_addc_u32 s21, s89, -1
	s_add_u32 s48, s46, -4
	s_addc_u32 s49, s47, -1
	s_add_u32 s30, s85, s42
	s_addc_u32 s31, s86, s43
	s_add_u32 s34, s83, s42
	s_addc_u32 s35, s84, s43
	s_lshl_b64 s[50:51], s[40:41], 2
	s_add_u32 s11, s50, s4
	s_addc_u32 s16, s51, s5
	v_readlane_b32 s22, v66, 8
	s_add_u32 s52, s22, s11
	v_readlane_b32 s22, v66, 9
	s_addc_u32 s53, s22, s16
	v_writelane_b32 v66, s52, 19
	v_writelane_b32 v66, s53, 20
	v_readlane_b32 s22, v66, 10
	s_add_u32 s54, s22, s42
	v_readlane_b32 s22, v66, 11
	s_addc_u32 s55, s22, s43
	s_add_u32 s41, s50, -4
	s_addc_u32 s22, s51, -1
	s_add_u32 s33, s33, s4
	s_addc_u32 s82, s37, s5
	v_readlane_b32 s4, v66, 12
	s_add_u32 s52, s4, s42
	v_readlane_b32 s4, v66, 13
	s_addc_u32 s53, s4, s43
	v_readlane_b32 s4, v66, 15
	v_mov_b32_e32 v1, s9
	v_add_co_u32_e32 v47, vcc, s8, v41
	s_add_u32 s56, s4, s11
	v_readlane_b32 s4, v66, 17
	v_cmp_gt_i32_e64 s[2:3], s40, v0
	v_addc_co_u32_e32 v48, vcc, v42, v1, vcc
	s_addc_u32 s57, s4, s16
	s_and_saveexec_b64 s[58:59], s[0:1]
	s_cbranch_execz .LBB6_40
.LBB6_17:                               ;   in Loop: Header=BB6_7 Depth=1
	s_cmp_lt_i32 s10, 1
	s_cbranch_scc1 .LBB6_19
; %bb.18:                               ;   in Loop: Header=BB6_7 Depth=1
	s_mov_b32 s11, s17
	s_lshl_b64 s[4:5], s[10:11], 2
	s_add_u32 s4, s20, s4
	s_addc_u32 s5, s21, s5
	global_store_dword v3, v3, s[4:5]
.LBB6_19:                               ;   in Loop: Header=BB6_7 Depth=1
	s_mov_b64 s[8:9], -1
	s_mov_b64 s[4:5], 0
	s_cmp_lt_i32 s10, s36
	s_mov_b64 s[60:61], 0
	s_cbranch_scc1 .LBB6_21
; %bb.20:                               ;   in Loop: Header=BB6_7 Depth=1
	s_ashr_i32 s11, s10, 31
	s_mov_b64 s[8:9], 0
	s_mov_b64 s[60:61], -1
.LBB6_21:                               ;   in Loop: Header=BB6_7 Depth=1
	s_andn2_b64 vcc, exec, s[8:9]
	s_cbranch_vccnz .LBB6_26
; %bb.22:                               ;   in Loop: Header=BB6_7 Depth=1
	s_ashr_i32 s11, s10, 31
	s_lshl_b64 s[4:5], s[10:11], 2
	s_add_u32 s68, s30, s4
	s_addc_u32 s69, s31, s5
	s_add_u32 s66, s34, s4
	s_addc_u32 s67, s35, s5
	s_mov_b64 s[70:71], s[10:11]
	s_branch .LBB6_24
.LBB6_23:                               ;   in Loop: Header=BB6_24 Depth=2
	s_andn2_b64 vcc, exec, s[4:5]
	s_cbranch_vccz .LBB6_27
.LBB6_24:                               ;   Parent Loop BB6_7 Depth=1
                                        ; =>  This Inner Loop Header: Depth=2
	global_load_dwordx2 v[8:9], v3, s[66:67]
	global_load_dword v1, v3, s[68:69]
	s_mov_b64 s[62:63], s[68:69]
	s_mov_b64 s[64:65], s[70:71]
	s_mov_b64 s[72:73], -1
                                        ; implicit-def: $sgpr70_sgpr71
                                        ; implicit-def: $sgpr68_sgpr69
	s_waitcnt vmcnt(0)
	v_mul_f32_e64 v2, |v9|, s91
	v_cmp_lt_f32_e64 vcc, |v9|, s90
	v_mul_f32_e64 v10, |v8|, s91
	v_cndmask_b32_e64 v2, |v9|, v2, vcc
	v_cmp_lt_f32_e64 s[4:5], |v8|, s90
	v_sqrt_f32_e32 v9, v2
	v_cndmask_b32_e64 v8, |v8|, v10, s[4:5]
	v_sqrt_f32_e32 v10, v8
	v_add_u32_e32 v11, -1, v9
	v_fma_f32 v19, -v11, v9, v2
	v_add_u32_e32 v13, -1, v10
	v_add_u32_e32 v12, 1, v9
	v_fma_f32 v21, -v13, v10, v8
	v_cmp_ge_f32_e64 s[8:9], 0, v19
	v_add_u32_e32 v18, 1, v10
	v_fma_f32 v20, -v12, v9, v2
	v_cndmask_b32_e64 v9, v9, v11, s[8:9]
	v_cmp_ge_f32_e64 s[8:9], 0, v21
	v_fma_f32 v22, -v18, v10, v8
	v_cndmask_b32_e64 v10, v10, v13, s[8:9]
	v_cmp_lt_f32_e64 s[8:9], 0, v20
	v_cndmask_b32_e64 v9, v9, v12, s[8:9]
	v_cmp_lt_f32_e64 s[8:9], 0, v22
	v_cndmask_b32_e64 v10, v10, v18, s[8:9]
	v_mul_f32_e32 v11, 0x37800000, v9
	v_mul_f32_e32 v12, 0x37800000, v10
	v_cndmask_b32_e32 v9, v9, v11, vcc
	v_cmp_class_f32_e32 vcc, v2, v45
	v_cndmask_b32_e64 v10, v10, v12, s[4:5]
	v_cndmask_b32_e32 v2, v9, v2, vcc
	v_cmp_class_f32_e32 vcc, v8, v45
	v_cndmask_b32_e32 v8, v10, v8, vcc
	v_mul_f32_e32 v2, v8, v2
	v_mul_f32_e32 v2, s12, v2
	s_waitcnt vmcnt(0)
	v_cmp_nle_f32_e64 s[4:5], |v1|, v2
	s_and_b64 vcc, exec, s[4:5]
	s_mov_b64 s[4:5], -1
	s_cbranch_vccz .LBB6_23
; %bb.25:                               ;   in Loop: Header=BB6_24 Depth=2
	s_add_u32 s70, s64, 1
	s_addc_u32 s71, s65, 0
	s_add_u32 s68, s62, 4
	s_addc_u32 s69, s63, 0
	;; [unrolled: 2-line block ×3, first 2 shown]
	s_cmp_ge_i32 s70, s36
	s_mov_b64 s[72:73], 0
	s_cselect_b64 s[4:5], -1, 0
	s_branch .LBB6_23
.LBB6_26:                               ;   in Loop: Header=BB6_7 Depth=1
	s_mov_b32 s16, s10
	s_mov_b64 s[8:9], s[10:11]
	s_and_b64 vcc, exec, s[60:61]
	s_cbranch_vccnz .LBB6_30
	s_branch .LBB6_31
.LBB6_27:                               ;   in Loop: Header=BB6_7 Depth=1
	s_xor_b64 s[8:9], s[72:73], -1
	s_mov_b64 s[4:5], -1
	s_and_b64 vcc, exec, s[8:9]
                                        ; implicit-def: $sgpr8_sgpr9
	s_cbranch_vccz .LBB6_29
; %bb.28:                               ;   in Loop: Header=BB6_7 Depth=1
	s_ashr_i32 s37, s36, 31
	s_mov_b64 s[60:61], -1
	s_mov_b64 s[4:5], 0
	s_mov_b64 s[8:9], s[36:37]
.LBB6_29:                               ;   in Loop: Header=BB6_7 Depth=1
	v_pk_mov_b32 v[8:9], s[64:65], s[64:65] op_sel:[0,1]
	v_pk_mov_b32 v[10:11], s[62:63], s[62:63] op_sel:[0,1]
	;; [unrolled: 1-line block ×3, first 2 shown]
	s_mov_b32 s16, s36
	s_and_b64 vcc, exec, s[60:61]
	s_cbranch_vccz .LBB6_31
.LBB6_30:                               ;   in Loop: Header=BB6_7 Depth=1
	v_mov_b32_e32 v1, s16
	ds_write_b32 v3, v1 offset:4
.LBB6_31:                               ;   in Loop: Header=BB6_7 Depth=1
	s_andn2_b64 vcc, exec, s[4:5]
	v_pk_mov_b32 v[18:19], s[10:11], s[10:11] op_sel:[0,1]
	v_pk_mov_b32 v[20:21], s[8:9], s[8:9] op_sel:[0,1]
	v_mov_b32_e32 v1, s16
	s_cbranch_vccnz .LBB6_33
; %bb.32:                               ;   in Loop: Header=BB6_7 Depth=1
	v_pk_mov_b32 v[18:19], v[12:13], v[12:13] op_sel:[0,1]
	v_pk_mov_b32 v[20:21], v[8:9], v[8:9] op_sel:[0,1]
	v_mov_b32_e32 v1, v8
	ds_write_b32 v3, v8 offset:4
	global_store_dword v[10:11], v3, off
.LBB6_33:                               ;   in Loop: Header=BB6_7 Depth=1
	v_lshlrev_b64 v[20:21], 2, v[20:21]
	v_mov_b32_e32 v2, s45
	v_add_co_u32_e32 v22, vcc, s44, v20
	v_addc_co_u32_e32 v23, vcc, v2, v21, vcc
	v_lshlrev_b64 v[20:21], 2, v[18:19]
	v_add_co_u32_e32 v18, vcc, s44, v20
	v_addc_co_u32_e32 v19, vcc, v2, v21, vcc
	global_load_dword v2, v[22:23], off
	s_nop 0
	global_load_dword v18, v[18:19], off
	v_mov_b32_e32 v19, s10
	ds_write2_b32 v3, v19, v1 offset1:5
	ds_write_b32 v3, v1 offset:32
	v_add_u32_e32 v19, 1, v1
	v_mov_b32_e32 v22, s10
	ds_write2_b32 v3, v19, v22 offset0:3 offset1:4
	s_waitcnt vmcnt(0)
	v_cmp_lt_f32_e64 s[8:9], |v2|, |v18|
	s_and_saveexec_b64 s[4:5], s[8:9]
	s_cbranch_execz .LBB6_35
; %bb.34:                               ;   in Loop: Header=BB6_7 Depth=1
	v_mov_b32_e32 v18, s10
	ds_write2_b32 v3, v1, v18 offset1:5
.LBB6_35:                               ;   in Loop: Header=BB6_7 Depth=1
	s_or_b64 exec, exec, s[4:5]
	v_and_b32_e32 v2, 0x7fffffff, v2
	v_cmp_lt_i32_e32 vcc, s10, v1
	s_and_saveexec_b64 s[4:5], vcc
	s_cbranch_execz .LBB6_39
; %bb.36:                               ;   in Loop: Header=BB6_7 Depth=1
	v_mov_b32_e32 v19, s35
	v_add_co_u32_e32 v18, vcc, s34, v20
	v_addc_co_u32_e32 v19, vcc, v19, v21, vcc
	v_mov_b32_e32 v22, s31
	v_add_co_u32_e32 v20, vcc, s30, v20
	v_addc_co_u32_e32 v21, vcc, v22, v21, vcc
	s_mov_b64 s[8:9], 0
.LBB6_37:                               ;   Parent Loop BB6_7 Depth=1
                                        ; =>  This Inner Loop Header: Depth=2
	global_load_dword v22, v[18:19], off
	global_load_dword v23, v[20:21], off
	v_add_co_u32_e32 v18, vcc, 4, v18
	v_addc_co_u32_e32 v19, vcc, 0, v19, vcc
	v_add_co_u32_e32 v20, vcc, 4, v20
	s_add_i32 s10, s10, 1
	v_addc_co_u32_e32 v21, vcc, 0, v21, vcc
	v_cmp_ge_i32_e32 vcc, s10, v1
	s_or_b64 s[8:9], vcc, s[8:9]
	s_waitcnt vmcnt(0)
	v_max3_f32 v2, v2, |v22|, |v23|
	s_andn2_b64 exec, exec, s[8:9]
	s_cbranch_execnz .LBB6_37
; %bb.38:                               ;   in Loop: Header=BB6_7 Depth=1
	s_or_b64 exec, exec, s[8:9]
.LBB6_39:                               ;   in Loop: Header=BB6_7 Depth=1
	s_or_b64 exec, exec, s[4:5]
	ds_write_b32 v3, v2 offset:24
.LBB6_40:                               ;   Parent Loop BB6_7 Depth=1
                                        ; =>  This Loop Header: Depth=2
                                        ;       Child Loop BB6_47 Depth 3
                                        ;       Child Loop BB6_55 Depth 3
	;; [unrolled: 1-line block ×3, first 2 shown]
                                        ;         Child Loop BB6_70 Depth 4
                                        ;         Child Loop BB6_89 Depth 4
	;; [unrolled: 1-line block ×3, first 2 shown]
                                        ;           Child Loop BB6_136 Depth 5
                                        ;       Child Loop BB6_161 Depth 3
                                        ;         Child Loop BB6_169 Depth 4
                                        ;         Child Loop BB6_188 Depth 4
	;; [unrolled: 1-line block ×3, first 2 shown]
                                        ;           Child Loop BB6_235 Depth 5
                                        ;       Child Loop BB6_147 Depth 3
                                        ;       Child Loop BB6_154 Depth 3
	s_or_b64 exec, exec, s[58:59]
	s_waitcnt lgkmcnt(0)
	s_barrier
	ds_read2_b32 v[18:19], v3 offset0:5 offset1:6
	ds_read_b32 v1, v3
	s_waitcnt lgkmcnt(0)
	v_readfirstlane_b32 s4, v18
	s_waitcnt lgkmcnt(0)
	v_readfirstlane_b32 s5, v1
	v_readfirstlane_b32 s10, v19
	s_cmp_eq_u32 s4, s5
	s_cselect_b64 s[4:5], -1, 0
	v_cmp_eq_f32_e64 s[8:9], s10, 0
	s_or_b64 s[4:5], s[4:5], s[8:9]
	s_and_b64 vcc, exec, s[4:5]
	s_cbranch_vccnz .LBB6_138
; %bb.41:                               ;   in Loop: Header=BB6_40 Depth=2
	v_mov_b32_e32 v1, s14
	v_cmp_ngt_f32_e32 vcc, s10, v1
	s_mov_b64 s[4:5], -1
	s_cbranch_vccz .LBB6_50
; %bb.42:                               ;   in Loop: Header=BB6_40 Depth=2
	v_mov_b32_e32 v1, s13
	v_cmp_nlt_f32_e32 vcc, s10, v1
	s_cbranch_vccnz .LBB6_49
; %bb.43:                               ;   in Loop: Header=BB6_40 Depth=2
	v_mov_b32_e32 v1, s10
	v_div_scale_f32 v2, s[4:5], s13, s13, v1
	v_rcp_f32_e32 v20, v2
	v_mov_b32_e32 v21, s13
	v_div_scale_f32 v21, vcc, s10, v21, s10
	v_fma_f32 v22, -v2, v20, 1.0
	v_fmac_f32_e32 v20, v22, v20
	v_mul_f32_e32 v22, v21, v20
	ds_read2_b32 v[18:19], v3 offset0:4 offset1:8
	v_fma_f32 v23, -v2, v22, v21
	v_fmac_f32_e32 v22, v23, v20
	v_fma_f32 v2, -v2, v22, v21
	v_div_fmas_f32 v2, v2, v20, v22
	v_div_fixup_f32 v22, v2, s13, v1
	s_and_saveexec_b64 s[4:5], s[0:1]
	s_cbranch_execz .LBB6_45
; %bb.44:                               ;   in Loop: Header=BB6_40 Depth=2
	s_waitcnt lgkmcnt(0)
	v_ashrrev_i32_e32 v21, 31, v19
	v_mov_b32_e32 v20, v19
	v_lshlrev_b64 v[20:21], 2, v[20:21]
	v_mov_b32_e32 v1, s45
	v_add_co_u32_e32 v20, vcc, s44, v20
	v_addc_co_u32_e32 v21, vcc, v1, v21, vcc
	global_load_dword v1, v[20:21], off
	s_waitcnt vmcnt(0)
	v_mul_f32_e32 v1, v22, v1
	global_store_dword v[20:21], v1, off
.LBB6_45:                               ;   in Loop: Header=BB6_40 Depth=2
	s_or_b64 exec, exec, s[4:5]
	s_waitcnt lgkmcnt(0)
	v_add_u32_e32 v20, v18, v0
	v_cmp_lt_i32_e32 vcc, v20, v19
	s_and_saveexec_b64 s[4:5], vcc
	s_cbranch_execz .LBB6_48
; %bb.46:                               ;   in Loop: Header=BB6_40 Depth=2
	v_ashrrev_i32_e32 v21, 31, v20
	v_lshlrev_b64 v[24:25], 2, v[20:21]
	v_mov_b32_e32 v1, s43
	v_add_co_u32_e32 v2, vcc, s42, v24
	v_addc_co_u32_e32 v1, vcc, v1, v25, vcc
	s_mov_b64 s[8:9], 0
.LBB6_47:                               ;   Parent Loop BB6_7 Depth=1
                                        ;     Parent Loop BB6_40 Depth=2
                                        ; =>    This Inner Loop Header: Depth=3
	v_mov_b32_e32 v18, s84
	v_add_co_u32_e32 v24, vcc, s83, v2
	v_addc_co_u32_e32 v25, vcc, v18, v1, vcc
	global_load_dword v18, v[24:25], off
	v_mov_b32_e32 v21, s86
	v_add_co_u32_e32 v26, vcc, s85, v2
	v_addc_co_u32_e32 v27, vcc, v21, v1, vcc
	v_mov_b32_e32 v21, s93
	v_add_co_u32_e32 v2, vcc, s92, v2
	v_add_u32_e32 v20, s15, v20
	v_addc_co_u32_e32 v1, vcc, v1, v21, vcc
	v_cmp_ge_i32_e32 vcc, v20, v19
	s_or_b64 s[8:9], vcc, s[8:9]
	s_waitcnt vmcnt(0)
	v_mul_f32_e32 v18, v22, v18
	global_store_dword v[24:25], v18, off
	global_load_dword v18, v[26:27], off
	s_waitcnt vmcnt(0)
	v_mul_f32_e32 v18, v22, v18
	global_store_dword v[26:27], v18, off
	s_andn2_b64 exec, exec, s[8:9]
	s_cbranch_execnz .LBB6_47
.LBB6_48:                               ;   in Loop: Header=BB6_40 Depth=2
	s_or_b64 exec, exec, s[4:5]
.LBB6_49:                               ;   in Loop: Header=BB6_40 Depth=2
	s_mov_b64 s[4:5], 0
.LBB6_50:                               ;   in Loop: Header=BB6_40 Depth=2
	s_andn2_b64 vcc, exec, s[4:5]
	s_cbranch_vccnz .LBB6_57
; %bb.51:                               ;   in Loop: Header=BB6_40 Depth=2
	v_mov_b32_e32 v1, s10
	v_div_scale_f32 v2, s[4:5], s14, s14, v1
	v_rcp_f32_e32 v20, v2
	v_mov_b32_e32 v21, s14
	v_div_scale_f32 v21, vcc, s10, v21, s10
	v_fma_f32 v22, -v2, v20, 1.0
	v_fmac_f32_e32 v20, v22, v20
	v_mul_f32_e32 v22, v21, v20
	ds_read2_b32 v[18:19], v3 offset0:4 offset1:8
	v_fma_f32 v23, -v2, v22, v21
	v_fmac_f32_e32 v22, v23, v20
	v_fma_f32 v2, -v2, v22, v21
	v_div_fmas_f32 v2, v2, v20, v22
	v_div_fixup_f32 v22, v2, s14, v1
	s_and_saveexec_b64 s[4:5], s[0:1]
	s_cbranch_execz .LBB6_53
; %bb.52:                               ;   in Loop: Header=BB6_40 Depth=2
	s_waitcnt lgkmcnt(0)
	v_ashrrev_i32_e32 v21, 31, v19
	v_mov_b32_e32 v20, v19
	v_lshlrev_b64 v[20:21], 2, v[20:21]
	v_mov_b32_e32 v1, s45
	v_add_co_u32_e32 v20, vcc, s44, v20
	v_addc_co_u32_e32 v21, vcc, v1, v21, vcc
	global_load_dword v1, v[20:21], off
	s_waitcnt vmcnt(0)
	v_mul_f32_e32 v1, v22, v1
	global_store_dword v[20:21], v1, off
.LBB6_53:                               ;   in Loop: Header=BB6_40 Depth=2
	s_or_b64 exec, exec, s[4:5]
	s_waitcnt lgkmcnt(0)
	v_add_u32_e32 v20, v18, v0
	v_cmp_lt_i32_e32 vcc, v20, v19
	s_and_saveexec_b64 s[4:5], vcc
	s_cbranch_execz .LBB6_56
; %bb.54:                               ;   in Loop: Header=BB6_40 Depth=2
	v_ashrrev_i32_e32 v21, 31, v20
	v_lshlrev_b64 v[24:25], 2, v[20:21]
	v_mov_b32_e32 v1, s43
	v_add_co_u32_e32 v2, vcc, s42, v24
	v_addc_co_u32_e32 v1, vcc, v1, v25, vcc
	s_mov_b64 s[8:9], 0
.LBB6_55:                               ;   Parent Loop BB6_7 Depth=1
                                        ;     Parent Loop BB6_40 Depth=2
                                        ; =>    This Inner Loop Header: Depth=3
	v_mov_b32_e32 v18, s84
	v_add_co_u32_e32 v24, vcc, s83, v2
	v_addc_co_u32_e32 v25, vcc, v18, v1, vcc
	global_load_dword v18, v[24:25], off
	v_mov_b32_e32 v21, s86
	v_add_co_u32_e32 v26, vcc, s85, v2
	v_addc_co_u32_e32 v27, vcc, v21, v1, vcc
	v_mov_b32_e32 v21, s93
	v_add_co_u32_e32 v2, vcc, s92, v2
	v_add_u32_e32 v20, s15, v20
	v_addc_co_u32_e32 v1, vcc, v1, v21, vcc
	v_cmp_ge_i32_e32 vcc, v20, v19
	s_or_b64 s[8:9], vcc, s[8:9]
	s_waitcnt vmcnt(0)
	v_mul_f32_e32 v18, v22, v18
	global_store_dword v[24:25], v18, off
	global_load_dword v18, v[26:27], off
	s_waitcnt vmcnt(0)
	v_mul_f32_e32 v18, v22, v18
	global_store_dword v[26:27], v18, off
	s_andn2_b64 exec, exec, s[8:9]
	s_cbranch_execnz .LBB6_55
.LBB6_56:                               ;   in Loop: Header=BB6_40 Depth=2
	s_or_b64 exec, exec, s[4:5]
.LBB6_57:                               ;   in Loop: Header=BB6_40 Depth=2
	s_barrier
	ds_read2_b32 v[18:19], v3 offset1:5
	ds_read_b32 v23, v3 offset:28
	s_waitcnt lgkmcnt(0)
	v_cmp_lt_i32_e32 vcc, v19, v18
	s_waitcnt lgkmcnt(0)
	v_cmp_gt_i32_e64 s[4:5], s25, v23
	v_cndmask_b32_e64 v1, 0, 1, s[4:5]
	v_mov_b32_e32 v22, v19
	v_cmp_ne_u32_e64 s[4:5], 1, v1
	s_cbranch_vccnz .LBB6_139
; %bb.58:                               ;   in Loop: Header=BB6_40 Depth=2
	s_and_b64 vcc, exec, s[4:5]
	v_pk_mov_b32 v[24:25], v[16:17], v[16:17] op_sel:[0,1]
	v_pk_mov_b32 v[20:21], v[14:15], v[14:15] op_sel:[0,1]
	v_mov_b32_e32 v19, v49
	v_mov_b32_e32 v35, v23
	;; [unrolled: 1-line block ×4, first 2 shown]
	s_cbranch_vccz .LBB6_62
.LBB6_59:                               ;   in Loop: Header=BB6_40 Depth=2
	s_cbranch_execz .LBB6_140
	s_branch .LBB6_142
.LBB6_60:                               ;   in Loop: Header=BB6_62 Depth=3
	s_or_b64 exec, exec, s[10:11]
	s_waitcnt lgkmcnt(0)
	s_barrier
	ds_read_b32 v26, v3
.LBB6_61:                               ;   in Loop: Header=BB6_62 Depth=3
	ds_read2_b32 v[34:35], v3 offset0:5 offset1:7
	s_waitcnt lgkmcnt(0)
	v_cmp_le_i32_e32 vcc, v26, v34
	v_cmp_gt_i32_e64 s[8:9], s25, v35
	s_and_b64 s[8:9], vcc, s[8:9]
	s_andn2_b64 vcc, exec, s[8:9]
	s_cbranch_vccnz .LBB6_59
.LBB6_62:                               ;   Parent Loop BB6_7 Depth=1
                                        ;     Parent Loop BB6_40 Depth=2
                                        ; =>    This Loop Header: Depth=3
                                        ;         Child Loop BB6_70 Depth 4
                                        ;         Child Loop BB6_89 Depth 4
	;; [unrolled: 1-line block ×3, first 2 shown]
                                        ;           Child Loop BB6_136 Depth 5
	s_and_saveexec_b64 s[58:59], s[0:1]
	s_cbranch_execz .LBB6_131
; %bb.63:                               ;   in Loop: Header=BB6_62 Depth=3
	v_cmp_lt_i32_e32 vcc, v26, v34
	s_mov_b64 s[8:9], 0
	s_cbranch_vccnz .LBB6_67
; %bb.64:                               ;   in Loop: Header=BB6_62 Depth=3
	v_ashrrev_i32_e32 v27, 31, v26
	s_mov_b64 s[10:11], -1
	v_pk_mov_b32 v[28:29], v[26:27], v[26:27] op_sel:[0,1]
	v_mov_b32_e32 v30, v26
	s_cbranch_execz .LBB6_68
; %bb.65:                               ;   in Loop: Header=BB6_62 Depth=3
	s_and_b64 vcc, exec, s[10:11]
	s_cbranch_vccz .LBB6_73
.LBB6_66:                               ;   in Loop: Header=BB6_62 Depth=3
	ds_write2_b32 v3, v30, v26 offset0:1 offset1:4
	s_cbranch_execz .LBB6_74
	s_branch .LBB6_75
.LBB6_67:                               ;   in Loop: Header=BB6_62 Depth=3
                                        ; implicit-def: $vgpr28_vgpr29
	s_mov_b64 s[10:11], 0
	v_mov_b32_e32 v30, v26
.LBB6_68:                               ;   in Loop: Header=BB6_62 Depth=3
	v_ashrrev_i32_e32 v27, 31, v26
	v_lshlrev_b64 v[20:21], 2, v[26:27]
	v_mov_b32_e32 v1, s31
	v_add_co_u32_e32 v28, vcc, s30, v20
	v_addc_co_u32_e32 v29, vcc, v1, v21, vcc
	v_mov_b32_e32 v1, s35
	v_add_co_u32_e32 v24, vcc, s34, v20
	v_addc_co_u32_e32 v25, vcc, v1, v21, vcc
	v_mov_b32_e32 v1, v26
	s_branch .LBB6_70
.LBB6_69:                               ;   in Loop: Header=BB6_70 Depth=4
	v_add_co_u32_e32 v28, vcc, 4, v20
	v_addc_co_u32_e32 v29, vcc, 0, v21, vcc
	v_add_u32_e32 v1, 1, v19
	v_add_co_u32_e32 v24, vcc, 4, v24
	v_addc_co_u32_e32 v25, vcc, 0, v25, vcc
	s_mov_b64 s[8:9], 0
	v_cmp_ge_i32_e64 s[10:11], v1, v34
	s_andn2_b64 vcc, exec, s[10:11]
	s_cbranch_vccz .LBB6_72
.LBB6_70:                               ;   Parent Loop BB6_7 Depth=1
                                        ;     Parent Loop BB6_40 Depth=2
                                        ;       Parent Loop BB6_62 Depth=3
                                        ; =>      This Inner Loop Header: Depth=4
	v_pk_mov_b32 v[20:21], v[28:29], v[28:29] op_sel:[0,1]
	global_load_dwordx2 v[28:29], v[24:25], off
	global_load_dword v2, v[20:21], off
	v_mov_b32_e32 v19, v1
	s_waitcnt vmcnt(0)
	v_mul_f32_e32 v1, v28, v29
	s_waitcnt vmcnt(0)
	v_mul_f32_e32 v2, v2, v2
	v_mul_f32_e64 v1, v40, |v1|
	v_cmp_le_f32_e64 s[8:9], |v2|, v1
	s_and_b64 vcc, exec, s[8:9]
	s_cbranch_vccz .LBB6_69
; %bb.71:                               ;   in Loop: Header=BB6_62 Depth=3
	s_mov_b64 s[8:9], -1
                                        ; implicit-def: $vgpr1
                                        ; implicit-def: $vgpr28_vgpr29
                                        ; implicit-def: $vgpr24_vgpr25
.LBB6_72:                               ;   in Loop: Header=BB6_62 Depth=3
	s_xor_b64 s[10:11], s[8:9], -1
	s_mov_b64 s[8:9], -1
	v_pk_mov_b32 v[24:25], v[26:27], v[26:27] op_sel:[0,1]
	v_mov_b32_e32 v30, v34
	v_pk_mov_b32 v[28:29], v[26:27], v[26:27] op_sel:[0,1]
	s_and_b64 vcc, exec, s[10:11]
	s_cbranch_vccnz .LBB6_66
.LBB6_73:                               ;   in Loop: Header=BB6_62 Depth=3
                                        ; implicit-def: $vgpr30
                                        ; implicit-def: $vgpr28_vgpr29
	s_andn2_b64 vcc, exec, s[8:9]
	s_cbranch_vccnz .LBB6_75
.LBB6_74:                               ;   in Loop: Header=BB6_62 Depth=3
	v_pk_mov_b32 v[28:29], v[24:25], v[24:25] op_sel:[0,1]
	v_mov_b32_e32 v30, v19
	ds_write2_b32 v3, v19, v26 offset0:1 offset1:4
	global_store_dword v[20:21], v3, off
.LBB6_75:                               ;   in Loop: Header=BB6_62 Depth=3
	v_lshlrev_b64 v[32:33], 2, v[28:29]
	v_mov_b32_e32 v1, s45
	v_add_co_u32_e32 v28, vcc, s44, v32
	v_addc_co_u32_e32 v29, vcc, v1, v33, vcc
	global_load_dword v27, v[28:29], off
	v_cmp_ne_u32_e32 vcc, v30, v26
	v_add_u32_e32 v1, 1, v26
	s_waitcnt vmcnt(0)
	ds_write_b32 v3, v27 offset:8
	s_and_saveexec_b64 s[8:9], vcc
	s_xor_b64 s[60:61], exec, s[8:9]
	s_cbranch_execz .LBB6_128
; %bb.76:                               ;   in Loop: Header=BB6_62 Depth=3
	v_cmp_ne_u32_e32 vcc, v30, v1
	s_and_saveexec_b64 s[8:9], vcc
	s_xor_b64 s[62:63], exec, s[8:9]
	s_cbranch_execz .LBB6_104
; %bb.77:                               ;   in Loop: Header=BB6_62 Depth=3
	v_mov_b32_e32 v2, s89
	v_add_co_u32_e32 v32, vcc, s7, v32
	v_addc_co_u32_e32 v33, vcc, v2, v33, vcc
	global_load_dword v1, v[28:29], off offset:4
	global_load_dword v2, v[32:33], off
	v_ashrrev_i32_e32 v31, 31, v30
	v_lshlrev_b64 v[38:39], 2, v[30:31]
	v_mov_b32_e32 v34, s45
	v_add_co_u32_e32 v36, vcc, s44, v38
	v_addc_co_u32_e32 v37, vcc, v34, v39, vcc
	global_load_dword v31, v[36:37], off
	v_add_u32_e32 v35, 1, v35
	ds_write2_b32 v3, v3, v35 offset0:2 offset1:7
	s_waitcnt vmcnt(2)
	v_sub_f32_e32 v1, v1, v27
	s_waitcnt vmcnt(1)
	v_add_f32_e32 v34, v2, v2
	v_div_scale_f32 v50, s[8:9], v34, v34, v1
	v_rcp_f32_e32 v51, v50
	v_div_scale_f32 v52, vcc, v1, v34, v1
	v_cmp_gt_i32_e64 s[8:9], v30, v26
	v_fma_f32 v53, -v50, v51, 1.0
	v_fmac_f32_e32 v51, v53, v51
	v_mul_f32_e32 v53, v52, v51
	v_fma_f32 v54, -v50, v53, v52
	v_fmac_f32_e32 v53, v54, v51
	v_fma_f32 v50, -v50, v53, v52
	v_div_fmas_f32 v50, v50, v51, v53
	v_div_fixup_f32 v1, v50, v34, v1
	v_fma_f32 v34, v1, v1, 1.0
	v_mul_f32_e32 v50, 0x4f800000, v34
	v_cmp_gt_f32_e32 vcc, s90, v34
	v_cndmask_b32_e32 v34, v34, v50, vcc
	v_sqrt_f32_e32 v50, v34
	v_add_u32_e32 v35, -1, v50
	v_add_u32_e32 v51, 1, v50
	v_fma_f32 v52, -v35, v50, v34
	v_fma_f32 v53, -v51, v50, v34
	v_cmp_ge_f32_e64 s[10:11], 0, v52
	v_cndmask_b32_e64 v35, v50, v35, s[10:11]
	v_cmp_lt_f32_e64 s[10:11], 0, v53
	v_cndmask_b32_e64 v35, v35, v51, s[10:11]
	v_mul_f32_e32 v50, 0x37800000, v35
	v_cndmask_b32_e32 v35, v35, v50, vcc
	v_cmp_class_f32_e32 vcc, v34, v45
	v_cndmask_b32_e32 v34, v35, v34, vcc
	v_cmp_nle_f32_e32 vcc, 0, v1
	v_cndmask_b32_e64 v34, |v34|, -|v34|, vcc
	v_add_f32_e32 v1, v1, v34
	v_div_scale_f32 v34, s[10:11], v1, v1, v2
	v_rcp_f32_e32 v35, v34
	v_div_scale_f32 v51, vcc, v2, v1, v2
	s_waitcnt vmcnt(0)
	v_sub_f32_e32 v50, v31, v27
	v_fma_f32 v52, -v34, v35, 1.0
	v_fmac_f32_e32 v35, v52, v35
	v_mul_f32_e32 v52, v51, v35
	v_fma_f32 v53, -v34, v52, v51
	v_fmac_f32_e32 v52, v53, v35
	v_fma_f32 v34, -v34, v52, v51
	v_div_fmas_f32 v34, v34, v35, v52
	v_div_fixup_f32 v1, v34, v1, v2
	v_add_f32_e32 v1, v50, v1
	v_mov_b32_e32 v2, 0
	s_and_saveexec_b64 s[10:11], s[8:9]
	s_cbranch_execz .LBB6_103
; %bb.78:                               ;   in Loop: Header=BB6_62 Depth=3
	v_mov_b32_e32 v2, s21
	v_add_co_u32_e32 v34, vcc, s20, v38
	v_addc_co_u32_e32 v35, vcc, v2, v39, vcc
	global_load_dword v35, v[34:35], off
	v_mov_b32_e32 v27, 1.0
	v_mov_b32_e32 v50, 0
	s_waitcnt vmcnt(0)
	v_cmp_neq_f32_e32 vcc, 0, v35
	s_and_saveexec_b64 s[64:65], vcc
	s_cbranch_execz .LBB6_86
; %bb.79:                               ;   in Loop: Header=BB6_62 Depth=3
	v_cmp_neq_f32_e32 vcc, 0, v1
	v_mov_b32_e32 v50, 1.0
	v_mov_b32_e32 v27, 0
	s_and_saveexec_b64 s[66:67], vcc
	s_cbranch_execz .LBB6_85
; %bb.80:                               ;   in Loop: Header=BB6_62 Depth=3
	v_cmp_ngt_f32_e64 s[8:9], |v35|, |v1|
                                        ; implicit-def: $vgpr50
                                        ; implicit-def: $vgpr27
	s_and_saveexec_b64 s[68:69], s[8:9]
	s_xor_b64 s[68:69], exec, s[68:69]
	s_cbranch_execz .LBB6_82
; %bb.81:                               ;   in Loop: Header=BB6_62 Depth=3
	v_div_scale_f32 v2, s[8:9], v1, v1, -v35
	v_rcp_f32_e32 v27, v2
	v_div_scale_f32 v34, vcc, -v35, v1, -v35
	v_fma_f32 v50, -v2, v27, 1.0
	v_fmac_f32_e32 v27, v50, v27
	v_mul_f32_e32 v50, v34, v27
	v_fma_f32 v51, -v2, v50, v34
	v_fmac_f32_e32 v50, v51, v27
	v_fma_f32 v2, -v2, v50, v34
	v_div_fmas_f32 v2, v2, v27, v50
	v_div_fixup_f32 v1, v2, v1, -v35
	v_fma_f32 v2, v1, v1, 1.0
	v_mul_f32_e32 v27, 0x4f800000, v2
	v_cmp_gt_f32_e32 vcc, s90, v2
	v_cndmask_b32_e32 v2, v2, v27, vcc
	v_sqrt_f32_e32 v27, v2
	v_add_u32_e32 v34, -1, v27
	v_fma_f32 v51, -v34, v27, v2
	v_add_u32_e32 v50, 1, v27
	v_cmp_ge_f32_e64 s[8:9], 0, v51
	v_cndmask_b32_e64 v34, v27, v34, s[8:9]
	v_fma_f32 v27, -v50, v27, v2
	v_cmp_lt_f32_e64 s[8:9], 0, v27
	v_cndmask_b32_e64 v27, v34, v50, s[8:9]
	v_mul_f32_e32 v34, 0x37800000, v27
	v_cndmask_b32_e32 v27, v27, v34, vcc
	v_cmp_class_f32_e32 vcc, v2, v45
	v_cndmask_b32_e32 v2, v27, v2, vcc
	v_div_scale_f32 v27, s[8:9], v2, v2, 1.0
	v_rcp_f32_e32 v34, v27
	v_fma_f32 v50, -v27, v34, 1.0
	v_fmac_f32_e32 v34, v50, v34
	v_div_scale_f32 v50, vcc, 1.0, v2, 1.0
	v_mul_f32_e32 v51, v50, v34
	v_fma_f32 v52, -v27, v51, v50
	v_fmac_f32_e32 v51, v52, v34
	v_fma_f32 v27, -v27, v51, v50
	v_div_fmas_f32 v27, v27, v34, v51
	v_div_fixup_f32 v27, v27, v2, 1.0
	v_mul_f32_e32 v50, v1, v27
                                        ; implicit-def: $vgpr1
.LBB6_82:                               ;   in Loop: Header=BB6_62 Depth=3
	s_andn2_saveexec_b64 s[68:69], s[68:69]
	s_cbranch_execz .LBB6_84
; %bb.83:                               ;   in Loop: Header=BB6_62 Depth=3
	v_div_scale_f32 v2, s[8:9], v35, v35, -v1
	v_rcp_f32_e32 v27, v2
	v_div_scale_f32 v34, vcc, -v1, v35, -v1
	v_fma_f32 v50, -v2, v27, 1.0
	v_fmac_f32_e32 v27, v50, v27
	v_mul_f32_e32 v50, v34, v27
	v_fma_f32 v51, -v2, v50, v34
	v_fmac_f32_e32 v50, v51, v27
	v_fma_f32 v2, -v2, v50, v34
	v_div_fmas_f32 v2, v2, v27, v50
	v_div_fixup_f32 v1, v2, v35, -v1
	v_fma_f32 v2, v1, v1, 1.0
	v_mul_f32_e32 v27, 0x4f800000, v2
	v_cmp_gt_f32_e32 vcc, s90, v2
	v_cndmask_b32_e32 v2, v2, v27, vcc
	v_sqrt_f32_e32 v27, v2
	v_add_u32_e32 v34, -1, v27
	v_fma_f32 v51, -v34, v27, v2
	v_add_u32_e32 v50, 1, v27
	v_cmp_ge_f32_e64 s[8:9], 0, v51
	v_cndmask_b32_e64 v34, v27, v34, s[8:9]
	v_fma_f32 v27, -v50, v27, v2
	v_cmp_lt_f32_e64 s[8:9], 0, v27
	v_cndmask_b32_e64 v27, v34, v50, s[8:9]
	v_mul_f32_e32 v34, 0x37800000, v27
	v_cndmask_b32_e32 v27, v27, v34, vcc
	v_cmp_class_f32_e32 vcc, v2, v45
	v_cndmask_b32_e32 v2, v27, v2, vcc
	v_div_scale_f32 v27, s[8:9], v2, v2, 1.0
	v_rcp_f32_e32 v34, v27
	v_fma_f32 v50, -v27, v34, 1.0
	v_fmac_f32_e32 v34, v50, v34
	v_div_scale_f32 v50, vcc, 1.0, v2, 1.0
	v_mul_f32_e32 v51, v50, v34
	v_fma_f32 v52, -v27, v51, v50
	v_fmac_f32_e32 v51, v52, v34
	v_fma_f32 v27, -v27, v51, v50
	v_div_fmas_f32 v27, v27, v34, v51
	v_div_fixup_f32 v50, v27, v2, 1.0
	v_mul_f32_e32 v27, v1, v50
.LBB6_84:                               ;   in Loop: Header=BB6_62 Depth=3
	s_or_b64 exec, exec, s[68:69]
.LBB6_85:                               ;   in Loop: Header=BB6_62 Depth=3
	s_or_b64 exec, exec, s[66:67]
.LBB6_86:                               ;   in Loop: Header=BB6_62 Depth=3
	s_or_b64 exec, exec, s[64:65]
	global_load_dword v1, v[36:37], off offset:-4
	v_mov_b32_e32 v51, s49
	v_add_co_u32_e32 v38, vcc, s48, v38
	v_addc_co_u32_e32 v39, vcc, v51, v39, vcc
	v_add_f32_e32 v2, v27, v27
	v_mov_b32_e32 v53, s51
	v_add_co_u32_e32 v52, vcc, s50, v38
	v_add_u32_e32 v34, -1, v30
	v_addc_co_u32_e32 v53, vcc, v39, v53, vcc
	v_cmp_gt_i32_e32 vcc, v34, v26
	s_waitcnt vmcnt(0)
	v_sub_f32_e32 v1, v1, v31
	v_mul_f32_e32 v1, v50, v1
	v_fma_f32 v1, v35, v2, -v1
	v_mul_f32_e64 v2, v1, -v50
	v_fma_f32 v31, v1, -v50, v31
	v_fma_f32 v1, v27, v1, -v35
	ds_write_b32 v3, v2 offset:8
	global_store_dword v[36:37], v31, off
	global_store_dword v[38:39], v27, off
	global_store_dword v[52:53], v50, off offset:-4
	s_and_saveexec_b64 s[64:65], vcc
	s_cbranch_execz .LBB6_102
; %bb.87:                               ;   in Loop: Header=BB6_62 Depth=3
	v_ashrrev_i32_e32 v35, 31, v34
	v_readlane_b32 s72, v66, 19
	v_xor_b32_e32 v38, 0x80000000, v50
	v_lshlrev_b64 v[34:35], 2, v[34:35]
	s_mov_b32 s16, -1
	s_mov_b64 s[66:67], 0
	s_mov_b64 s[68:69], s[54:55]
	;; [unrolled: 1-line block ×3, first 2 shown]
	v_readlane_b32 s73, v66, 20
	s_mov_b64 s[74:75], s[48:49]
	s_branch .LBB6_89
.LBB6_88:                               ;   in Loop: Header=BB6_89 Depth=4
	v_mov_b32_e32 v1, s71
	v_add_co_u32_e32 v36, vcc, s70, v34
	v_addc_co_u32_e32 v37, vcc, v1, v35, vcc
	global_load_dwordx2 v[52:53], v[36:37], off offset:-4
	v_mul_f32_e32 v1, v27, v31
	v_mov_b32_e32 v31, s75
	v_add_co_u32_e32 v54, vcc, s74, v34
	s_add_u32 s74, s74, -4
	v_addc_co_u32_e32 v55, vcc, v31, v35, vcc
	s_addc_u32 s75, s75, -1
	v_add_co_u32_e32 v56, vcc, s72, v34
	s_add_u32 s72, s72, -4
	v_mov_b32_e32 v51, s73
	s_addc_u32 s73, s73, -1
	s_add_i32 s16, s16, -1
	v_addc_co_u32_e32 v57, vcc, v51, v35, vcc
	v_add_u32_e32 v31, s16, v30
	s_add_u32 s70, s70, -4
	v_cmp_le_i32_e32 vcc, v31, v26
	s_addc_u32 s71, s71, -1
	v_add_f32_e32 v27, v39, v39
	s_add_u32 s68, s68, -4
	s_addc_u32 s69, s69, -1
	v_xor_b32_e32 v38, 0x80000000, v50
	s_or_b64 s[66:67], vcc, s[66:67]
	s_waitcnt vmcnt(0)
	v_sub_f32_e32 v31, v53, v2
	v_sub_f32_e32 v2, v52, v31
	v_mul_f32_e32 v2, v50, v2
	v_fma_f32 v27, v1, v27, -v2
	v_mul_f32_e64 v2, v27, -v50
	v_fma_f32 v31, v27, -v50, v31
	v_fma_f32 v1, v39, v27, -v1
	v_mov_b32_e32 v27, v39
	global_store_dword v[36:37], v31, off
	global_store_dword v[54:55], v39, off
	;; [unrolled: 1-line block ×3, first 2 shown]
	s_andn2_b64 exec, exec, s[66:67]
	s_cbranch_execz .LBB6_101
.LBB6_89:                               ;   Parent Loop BB6_7 Depth=1
                                        ;     Parent Loop BB6_40 Depth=2
                                        ;       Parent Loop BB6_62 Depth=3
                                        ; =>      This Inner Loop Header: Depth=4
	v_mov_b32_e32 v31, s69
	v_add_co_u32_e32 v36, vcc, s68, v34
	v_addc_co_u32_e32 v37, vcc, v31, v35, vcc
	global_load_dword v31, v[36:37], off
	v_mov_b32_e32 v39, 1.0
	v_mov_b32_e32 v50, 0
	s_waitcnt vmcnt(0)
	v_mul_f32_e32 v38, v38, v31
	v_cmp_neq_f32_e32 vcc, 0, v38
	s_and_saveexec_b64 s[76:77], vcc
	s_cbranch_execz .LBB6_99
; %bb.90:                               ;   in Loop: Header=BB6_89 Depth=4
	v_cmp_neq_f32_e32 vcc, 0, v1
                                        ; implicit-def: $vgpr50
                                        ; implicit-def: $vgpr39
	s_and_saveexec_b64 s[8:9], vcc
	s_xor_b64 s[78:79], exec, s[8:9]
	s_cbranch_execz .LBB6_96
; %bb.91:                               ;   in Loop: Header=BB6_89 Depth=4
	v_cmp_ngt_f32_e64 s[8:9], |v38|, |v1|
                                        ; implicit-def: $vgpr50
                                        ; implicit-def: $vgpr39
	s_and_saveexec_b64 s[80:81], s[8:9]
	s_xor_b64 s[80:81], exec, s[80:81]
	s_cbranch_execz .LBB6_93
; %bb.92:                               ;   in Loop: Header=BB6_89 Depth=4
	v_div_scale_f32 v39, s[8:9], v1, v1, -v38
	v_rcp_f32_e32 v50, v39
	v_div_scale_f32 v51, vcc, -v38, v1, -v38
	v_fma_f32 v52, -v39, v50, 1.0
	v_fmac_f32_e32 v50, v52, v50
	v_mul_f32_e32 v52, v51, v50
	v_fma_f32 v53, -v39, v52, v51
	v_fmac_f32_e32 v52, v53, v50
	v_fma_f32 v39, -v39, v52, v51
	v_div_fmas_f32 v39, v39, v50, v52
	v_div_fixup_f32 v50, v39, v1, -v38
	v_fma_f32 v39, v50, v50, 1.0
	v_mul_f32_e32 v51, 0x4f800000, v39
	v_cmp_gt_f32_e32 vcc, s90, v39
	v_cndmask_b32_e32 v39, v39, v51, vcc
	v_sqrt_f32_e32 v51, v39
	v_add_u32_e32 v52, -1, v51
	v_fma_f32 v54, -v52, v51, v39
	v_add_u32_e32 v53, 1, v51
	v_cmp_ge_f32_e64 s[8:9], 0, v54
	v_cndmask_b32_e64 v52, v51, v52, s[8:9]
	v_fma_f32 v51, -v53, v51, v39
	v_cmp_lt_f32_e64 s[8:9], 0, v51
	v_cndmask_b32_e64 v51, v52, v53, s[8:9]
	v_mul_f32_e32 v52, 0x37800000, v51
	v_cndmask_b32_e32 v51, v51, v52, vcc
	v_cmp_class_f32_e32 vcc, v39, v45
	v_cndmask_b32_e32 v39, v51, v39, vcc
	v_div_scale_f32 v51, s[8:9], v39, v39, 1.0
	v_rcp_f32_e32 v52, v51
	v_fma_f32 v53, -v51, v52, 1.0
	v_fmac_f32_e32 v52, v53, v52
	v_div_scale_f32 v53, vcc, 1.0, v39, 1.0
	v_mul_f32_e32 v54, v53, v52
	v_fma_f32 v55, -v51, v54, v53
	v_fmac_f32_e32 v54, v55, v52
	v_fma_f32 v51, -v51, v54, v53
	v_div_fmas_f32 v51, v51, v52, v54
	v_div_fixup_f32 v39, v51, v39, 1.0
	v_mul_f32_e32 v50, v50, v39
.LBB6_93:                               ;   in Loop: Header=BB6_89 Depth=4
	s_andn2_saveexec_b64 s[80:81], s[80:81]
	s_cbranch_execz .LBB6_95
; %bb.94:                               ;   in Loop: Header=BB6_89 Depth=4
	v_div_scale_f32 v39, s[8:9], v38, v38, -v1
	v_rcp_f32_e32 v50, v39
	v_div_scale_f32 v51, vcc, -v1, v38, -v1
	v_fma_f32 v52, -v39, v50, 1.0
	v_fmac_f32_e32 v50, v52, v50
	v_mul_f32_e32 v52, v51, v50
	v_fma_f32 v53, -v39, v52, v51
	v_fmac_f32_e32 v52, v53, v50
	v_fma_f32 v39, -v39, v52, v51
	v_div_fmas_f32 v39, v39, v50, v52
	v_div_fixup_f32 v39, v39, v38, -v1
	v_fma_f32 v50, v39, v39, 1.0
	v_mul_f32_e32 v51, 0x4f800000, v50
	v_cmp_gt_f32_e32 vcc, s90, v50
	v_cndmask_b32_e32 v50, v50, v51, vcc
	v_sqrt_f32_e32 v51, v50
	v_add_u32_e32 v52, -1, v51
	v_fma_f32 v54, -v52, v51, v50
	v_add_u32_e32 v53, 1, v51
	v_cmp_ge_f32_e64 s[8:9], 0, v54
	v_cndmask_b32_e64 v52, v51, v52, s[8:9]
	v_fma_f32 v51, -v53, v51, v50
	v_cmp_lt_f32_e64 s[8:9], 0, v51
	v_cndmask_b32_e64 v51, v52, v53, s[8:9]
	v_mul_f32_e32 v52, 0x37800000, v51
	v_cndmask_b32_e32 v51, v51, v52, vcc
	v_cmp_class_f32_e32 vcc, v50, v45
	v_cndmask_b32_e32 v50, v51, v50, vcc
	v_div_scale_f32 v51, s[8:9], v50, v50, 1.0
	v_rcp_f32_e32 v52, v51
	v_fma_f32 v53, -v51, v52, 1.0
	v_fmac_f32_e32 v52, v53, v52
	v_div_scale_f32 v53, vcc, 1.0, v50, 1.0
	v_mul_f32_e32 v54, v53, v52
	v_fma_f32 v55, -v51, v54, v53
	v_fmac_f32_e32 v54, v55, v52
	v_fma_f32 v51, -v51, v54, v53
	v_div_fmas_f32 v51, v51, v52, v54
	v_div_fixup_f32 v50, v51, v50, 1.0
	v_mul_f32_e32 v39, v39, v50
.LBB6_95:                               ;   in Loop: Header=BB6_89 Depth=4
	s_or_b64 exec, exec, s[80:81]
	v_mul_f32_e32 v38, v38, v50
	v_fma_f32 v1, v1, v39, -v38
                                        ; implicit-def: $vgpr38
.LBB6_96:                               ;   in Loop: Header=BB6_89 Depth=4
	s_andn2_saveexec_b64 s[8:9], s[78:79]
; %bb.97:                               ;   in Loop: Header=BB6_89 Depth=4
	v_xor_b32_e32 v1, 0x80000000, v38
	v_mov_b32_e32 v50, 1.0
	v_mov_b32_e32 v39, 0
; %bb.98:                               ;   in Loop: Header=BB6_89 Depth=4
	s_or_b64 exec, exec, s[8:9]
.LBB6_99:                               ;   in Loop: Header=BB6_89 Depth=4
	s_or_b64 exec, exec, s[76:77]
	s_cmp_eq_u32 s16, 0
	s_cbranch_scc1 .LBB6_88
; %bb.100:                              ;   in Loop: Header=BB6_89 Depth=4
	global_store_dword v[36:37], v1, off offset:4
	s_branch .LBB6_88
.LBB6_101:                              ;   in Loop: Header=BB6_62 Depth=3
	s_or_b64 exec, exec, s[66:67]
	ds_write_b32 v3, v2 offset:8
.LBB6_102:                              ;   in Loop: Header=BB6_62 Depth=3
	s_or_b64 exec, exec, s[64:65]
	global_load_dword v27, v[28:29], off
.LBB6_103:                              ;   in Loop: Header=BB6_62 Depth=3
	s_or_b64 exec, exec, s[10:11]
	s_waitcnt vmcnt(0)
	v_sub_f32_e32 v2, v27, v2
	global_store_dword v[28:29], v2, off
	global_store_dword v[32:33], v1, off
                                        ; implicit-def: $vgpr32_vgpr33
                                        ; implicit-def: $vgpr28_vgpr29
                                        ; implicit-def: $vgpr26
                                        ; implicit-def: $vgpr27
.LBB6_104:                              ;   in Loop: Header=BB6_62 Depth=3
	s_andn2_saveexec_b64 s[62:63], s[62:63]
	s_cbranch_execz .LBB6_137
; %bb.105:                              ;   in Loop: Header=BB6_62 Depth=3
	v_mov_b32_e32 v1, s89
	v_add_co_u32_e32 v30, vcc, s7, v32
	v_addc_co_u32_e32 v31, vcc, v1, v33, vcc
	global_load_dword v34, v[28:29], off offset:4
	global_load_dword v37, v[30:31], off
                                        ; implicit-def: $vgpr2
	s_waitcnt vmcnt(1)
	v_sub_f32_e32 v36, v27, v34
	s_waitcnt vmcnt(0)
	v_add_f32_e32 v1, v37, v37
	v_and_b32_e32 v35, 0x7fffffff, v1
	v_cmp_ngt_f32_e64 s[8:9], |v36|, |v1|
	s_and_saveexec_b64 s[10:11], s[8:9]
	s_xor_b64 s[10:11], exec, s[10:11]
	s_cbranch_execz .LBB6_111
; %bb.106:                              ;   in Loop: Header=BB6_62 Depth=3
	v_cmp_nlt_f32_e64 s[8:9], |v36|, |v1|
                                        ; implicit-def: $vgpr2
	s_and_saveexec_b64 s[64:65], s[8:9]
	s_xor_b64 s[8:9], exec, s[64:65]
; %bb.107:                              ;   in Loop: Header=BB6_62 Depth=3
	s_mov_b32 s64, 0x667f3bcd
	v_cvt_f64_f32_e32 v[38:39], v35
	s_mov_b32 s65, 0x3ff6a09e
	v_mul_f64 v[38:39], v[38:39], s[64:65]
	v_cvt_f32_f64_e32 v2, v[38:39]
                                        ; implicit-def: $vgpr35
; %bb.108:                              ;   in Loop: Header=BB6_62 Depth=3
	s_andn2_saveexec_b64 s[64:65], s[8:9]
	s_cbranch_execz .LBB6_110
; %bb.109:                              ;   in Loop: Header=BB6_62 Depth=3
	v_and_b32_e32 v2, 0x7fffffff, v36
	v_div_scale_f32 v38, s[8:9], v35, v35, v2
	v_rcp_f32_e32 v39, v38
	v_div_scale_f32 v2, vcc, v2, v35, v2
	v_fma_f32 v35, -v38, v39, 1.0
	v_fmac_f32_e32 v39, v35, v39
	v_mul_f32_e32 v35, v2, v39
	v_fma_f32 v50, -v38, v35, v2
	v_fmac_f32_e32 v35, v50, v39
	v_fma_f32 v2, -v38, v35, v2
	v_div_fmas_f32 v2, v2, v39, v35
	v_div_fixup_f32 v2, v2, |v1|, |v36|
	v_fma_f32 v2, v2, v2, 1.0
	v_mul_f32_e32 v35, 0x4f800000, v2
	v_cmp_gt_f32_e32 vcc, s90, v2
	v_cndmask_b32_e32 v2, v2, v35, vcc
	v_sqrt_f32_e32 v35, v2
	v_add_u32_e32 v38, -1, v35
	v_fma_f32 v50, -v38, v35, v2
	v_add_u32_e32 v39, 1, v35
	v_cmp_ge_f32_e64 s[8:9], 0, v50
	v_cndmask_b32_e64 v38, v35, v38, s[8:9]
	v_fma_f32 v35, -v39, v35, v2
	v_cmp_lt_f32_e64 s[8:9], 0, v35
	v_cndmask_b32_e64 v35, v38, v39, s[8:9]
	v_mul_f32_e32 v38, 0x37800000, v35
	v_cndmask_b32_e32 v35, v35, v38, vcc
	v_cmp_class_f32_e32 vcc, v2, v45
	v_cndmask_b32_e32 v2, v35, v2, vcc
	v_mul_f32_e64 v2, |v1|, v2
.LBB6_110:                              ;   in Loop: Header=BB6_62 Depth=3
	s_or_b64 exec, exec, s[64:65]
                                        ; implicit-def: $vgpr35
.LBB6_111:                              ;   in Loop: Header=BB6_62 Depth=3
	s_andn2_saveexec_b64 s[10:11], s[10:11]
	s_cbranch_execz .LBB6_113
; %bb.112:                              ;   in Loop: Header=BB6_62 Depth=3
	v_and_b32_e32 v2, 0x7fffffff, v36
	v_div_scale_f32 v38, s[8:9], v2, v2, v35
	v_rcp_f32_e32 v39, v38
	v_div_scale_f32 v2, vcc, v35, v2, v35
	v_fma_f32 v35, -v38, v39, 1.0
	v_fmac_f32_e32 v39, v35, v39
	v_mul_f32_e32 v35, v2, v39
	v_fma_f32 v50, -v38, v35, v2
	v_fmac_f32_e32 v35, v50, v39
	v_fma_f32 v2, -v38, v35, v2
	v_div_fmas_f32 v2, v2, v39, v35
	v_div_fixup_f32 v2, v2, |v36|, |v1|
	v_fma_f32 v2, v2, v2, 1.0
	v_mul_f32_e32 v35, 0x4f800000, v2
	v_cmp_gt_f32_e32 vcc, s90, v2
	v_cndmask_b32_e32 v2, v2, v35, vcc
	v_sqrt_f32_e32 v35, v2
	v_add_u32_e32 v38, -1, v35
	v_fma_f32 v39, -v38, v35, v2
	v_cmp_ge_f32_e64 s[8:9], 0, v39
	v_add_u32_e32 v39, 1, v35
	v_cndmask_b32_e64 v38, v35, v38, s[8:9]
	v_fma_f32 v35, -v39, v35, v2
	v_cmp_lt_f32_e64 s[8:9], 0, v35
	v_cndmask_b32_e64 v35, v38, v39, s[8:9]
	v_mul_f32_e32 v38, 0x37800000, v35
	v_cndmask_b32_e32 v35, v35, v38, vcc
	v_cmp_class_f32_e32 vcc, v2, v45
	v_cndmask_b32_e32 v2, v35, v2, vcc
	v_mul_f32_e64 v2, |v36|, v2
.LBB6_113:                              ;   in Loop: Header=BB6_62 Depth=3
	s_or_b64 exec, exec, s[10:11]
	v_add_f32_e32 v39, v27, v34
	v_cmp_gt_f32_e64 vcc, |v27|, |v34|
	v_cndmask_b32_e32 v38, v27, v34, vcc
	v_cndmask_b32_e32 v50, v34, v27, vcc
	v_cmp_ngt_f32_e32 vcc, 0, v39
                                        ; implicit-def: $vgpr27
                                        ; implicit-def: $vgpr34_vgpr35
	s_and_saveexec_b64 s[8:9], vcc
	s_xor_b64 s[8:9], exec, s[8:9]
	s_cbranch_execz .LBB6_119
; %bb.114:                              ;   in Loop: Header=BB6_62 Depth=3
	v_cmp_nlt_f32_e32 vcc, 0, v39
                                        ; implicit-def: $sgpr16
                                        ; implicit-def: $vgpr34_vgpr35
	s_and_saveexec_b64 s[10:11], vcc
	s_xor_b64 s[10:11], exec, s[10:11]
; %bb.115:                              ;   in Loop: Header=BB6_62 Depth=3
	s_mov_b32 s64, 0.5
	s_mov_b32 s65, -0.5
	v_pk_mul_f32 v[34:35], v[2:3], s[64:65] op_sel_hi:[0,1]
	s_mov_b32 s16, 1
                                        ; implicit-def: $vgpr39
                                        ; implicit-def: $vgpr50
                                        ; implicit-def: $vgpr38
                                        ; implicit-def: $vgpr37
; %bb.116:                              ;   in Loop: Header=BB6_62 Depth=3
	s_or_saveexec_b64 s[10:11], s[10:11]
	v_mov_b32_e32 v27, s16
	s_xor_b64 exec, exec, s[10:11]
	s_cbranch_execz .LBB6_118
; %bb.117:                              ;   in Loop: Header=BB6_62 Depth=3
	v_add_f32_e32 v27, v39, v2
	v_mul_f32_e32 v34, 0.5, v27
	v_cvt_f64_f32_e32 v[50:51], v50
	v_cvt_f64_f32_e32 v[52:53], v34
	v_div_scale_f64 v[54:55], s[64:65], v[52:53], v[52:53], v[50:51]
	v_rcp_f64_e32 v[56:57], v[54:55]
	v_cvt_f64_f32_e32 v[38:39], v38
	v_mov_b32_e32 v27, 1
	v_fma_f64 v[58:59], -v[54:55], v[56:57], 1.0
	v_fmac_f64_e32 v[56:57], v[56:57], v[58:59]
	v_fma_f64 v[58:59], -v[54:55], v[56:57], 1.0
	v_fmac_f64_e32 v[56:57], v[56:57], v[58:59]
	v_div_scale_f64 v[58:59], vcc, v[50:51], v[52:53], v[50:51]
	v_mul_f64 v[60:61], v[58:59], v[56:57]
	v_fma_f64 v[54:55], -v[54:55], v[60:61], v[58:59]
	v_cvt_f64_f32_e32 v[58:59], v37
	v_div_scale_f64 v[62:63], s[64:65], v[52:53], v[52:53], v[58:59]
	v_rcp_f64_e32 v[64:65], v[62:63]
	v_div_fmas_f64 v[54:55], v[54:55], v[56:57], v[60:61]
	v_div_fixup_f64 v[50:51], v[54:55], v[52:53], v[50:51]
	v_fma_f64 v[54:55], -v[62:63], v[64:65], 1.0
	v_fmac_f64_e32 v[64:65], v[64:65], v[54:55]
	v_fma_f64 v[54:55], -v[62:63], v[64:65], 1.0
	v_fmac_f64_e32 v[64:65], v[64:65], v[54:55]
	v_div_scale_f64 v[54:55], vcc, v[58:59], v[52:53], v[58:59]
	v_mul_f64 v[56:57], v[54:55], v[64:65]
	v_fma_f64 v[54:55], -v[62:63], v[56:57], v[54:55]
	s_nop 1
	v_div_fmas_f64 v[54:55], v[54:55], v[64:65], v[56:57]
	v_div_fixup_f64 v[52:53], v[54:55], v[52:53], v[58:59]
	v_mul_f64 v[52:53], v[52:53], v[58:59]
	v_fma_f64 v[38:39], v[50:51], v[38:39], -v[52:53]
	v_cvt_f32_f64_e32 v35, v[38:39]
.LBB6_118:                              ;   in Loop: Header=BB6_62 Depth=3
	s_or_b64 exec, exec, s[10:11]
                                        ; implicit-def: $vgpr39
                                        ; implicit-def: $vgpr50
                                        ; implicit-def: $vgpr38
                                        ; implicit-def: $vgpr37
.LBB6_119:                              ;   in Loop: Header=BB6_62 Depth=3
	s_andn2_saveexec_b64 s[8:9], s[8:9]
	s_cbranch_execz .LBB6_121
; %bb.120:                              ;   in Loop: Header=BB6_62 Depth=3
	v_sub_f32_e32 v27, v39, v2
	v_mul_f32_e32 v34, 0.5, v27
	v_cvt_f64_f32_e32 v[50:51], v50
	v_cvt_f64_f32_e32 v[52:53], v34
	v_div_scale_f64 v[54:55], s[10:11], v[52:53], v[52:53], v[50:51]
	v_rcp_f64_e32 v[56:57], v[54:55]
	v_cvt_f64_f32_e32 v[38:39], v38
	v_mov_b32_e32 v27, -1
	v_fma_f64 v[58:59], -v[54:55], v[56:57], 1.0
	v_fmac_f64_e32 v[56:57], v[56:57], v[58:59]
	v_fma_f64 v[58:59], -v[54:55], v[56:57], 1.0
	v_fmac_f64_e32 v[56:57], v[56:57], v[58:59]
	v_div_scale_f64 v[58:59], vcc, v[50:51], v[52:53], v[50:51]
	v_mul_f64 v[60:61], v[58:59], v[56:57]
	v_fma_f64 v[54:55], -v[54:55], v[60:61], v[58:59]
	v_cvt_f64_f32_e32 v[58:59], v37
	v_div_scale_f64 v[62:63], s[10:11], v[52:53], v[52:53], v[58:59]
	v_rcp_f64_e32 v[64:65], v[62:63]
	v_div_fmas_f64 v[54:55], v[54:55], v[56:57], v[60:61]
	v_div_fixup_f64 v[50:51], v[54:55], v[52:53], v[50:51]
	v_fma_f64 v[54:55], -v[62:63], v[64:65], 1.0
	v_fmac_f64_e32 v[64:65], v[64:65], v[54:55]
	v_fma_f64 v[54:55], -v[62:63], v[64:65], 1.0
	v_fmac_f64_e32 v[64:65], v[64:65], v[54:55]
	v_div_scale_f64 v[54:55], vcc, v[58:59], v[52:53], v[58:59]
	v_mul_f64 v[56:57], v[54:55], v[64:65]
	v_fma_f64 v[54:55], -v[62:63], v[56:57], v[54:55]
	s_nop 1
	v_div_fmas_f64 v[54:55], v[54:55], v[64:65], v[56:57]
	v_div_fixup_f64 v[52:53], v[54:55], v[52:53], v[58:59]
	v_mul_f64 v[52:53], v[52:53], v[58:59]
	v_fma_f64 v[38:39], v[50:51], v[38:39], -v[52:53]
	v_cvt_f32_f64_e32 v35, v[38:39]
.LBB6_121:                              ;   in Loop: Header=BB6_62 Depth=3
	s_or_b64 exec, exec, s[8:9]
	v_cmp_nle_f32_e64 s[8:9], 0, v36
	v_cndmask_b32_e64 v2, v2, -v2, s[8:9]
	v_add_f32_e32 v2, v36, v2
	v_cmp_ngt_f32_e64 s[10:11], |v2|, |v1|
                                        ; implicit-def: $vgpr36
                                        ; implicit-def: $vgpr37
	s_and_saveexec_b64 s[64:65], s[10:11]
	s_xor_b64 s[64:65], exec, s[64:65]
	s_cbranch_execz .LBB6_125
; %bb.122:                              ;   in Loop: Header=BB6_62 Depth=3
	v_cmp_neq_f32_e32 vcc, 0, v1
	v_mov_b32_e32 v36, 1.0
	v_mov_b32_e32 v37, 0
	s_and_saveexec_b64 s[66:67], vcc
	s_cbranch_execz .LBB6_124
; %bb.123:                              ;   in Loop: Header=BB6_62 Depth=3
	v_div_scale_f32 v36, s[10:11], v1, v1, -v2
	v_rcp_f32_e32 v37, v36
	v_div_scale_f32 v38, vcc, -v2, v1, -v2
	v_fma_f32 v39, -v36, v37, 1.0
	v_fmac_f32_e32 v37, v39, v37
	v_mul_f32_e32 v39, v38, v37
	v_fma_f32 v50, -v36, v39, v38
	v_fmac_f32_e32 v39, v50, v37
	v_fma_f32 v36, -v36, v39, v38
	v_div_fmas_f32 v36, v36, v37, v39
	v_div_fixup_f32 v1, v36, v1, -v2
	v_fma_f32 v2, v1, v1, 1.0
	v_mul_f32_e32 v36, 0x4f800000, v2
	v_cmp_gt_f32_e32 vcc, s90, v2
	v_cndmask_b32_e32 v2, v2, v36, vcc
	v_sqrt_f32_e32 v36, v2
	v_add_u32_e32 v37, -1, v36
	v_fma_f32 v39, -v37, v36, v2
	v_add_u32_e32 v38, 1, v36
	v_cmp_ge_f32_e64 s[10:11], 0, v39
	v_cndmask_b32_e64 v37, v36, v37, s[10:11]
	v_fma_f32 v36, -v38, v36, v2
	v_cmp_lt_f32_e64 s[10:11], 0, v36
	v_cndmask_b32_e64 v36, v37, v38, s[10:11]
	v_mul_f32_e32 v37, 0x37800000, v36
	v_cndmask_b32_e32 v36, v36, v37, vcc
	v_cmp_class_f32_e32 vcc, v2, v45
	v_cndmask_b32_e32 v2, v36, v2, vcc
	v_div_scale_f32 v36, s[10:11], v2, v2, 1.0
	v_rcp_f32_e32 v37, v36
	v_fma_f32 v38, -v36, v37, 1.0
	v_fmac_f32_e32 v37, v38, v37
	v_div_scale_f32 v38, vcc, 1.0, v2, 1.0
	v_mul_f32_e32 v39, v38, v37
	v_fma_f32 v50, -v36, v39, v38
	v_fmac_f32_e32 v39, v50, v37
	v_fma_f32 v36, -v36, v39, v38
	v_div_fmas_f32 v36, v36, v37, v39
	v_div_fixup_f32 v36, v36, v2, 1.0
	v_mul_f32_e32 v37, v1, v36
.LBB6_124:                              ;   in Loop: Header=BB6_62 Depth=3
	s_or_b64 exec, exec, s[66:67]
                                        ; implicit-def: $vgpr2
                                        ; implicit-def: $vgpr1
.LBB6_125:                              ;   in Loop: Header=BB6_62 Depth=3
	s_andn2_saveexec_b64 s[64:65], s[64:65]
	s_cbranch_execz .LBB6_127
; %bb.126:                              ;   in Loop: Header=BB6_62 Depth=3
	v_div_scale_f32 v36, s[10:11], v2, v2, -v1
	v_rcp_f32_e32 v37, v36
	v_div_scale_f32 v38, vcc, -v1, v2, -v1
	v_fma_f32 v39, -v36, v37, 1.0
	v_fmac_f32_e32 v37, v39, v37
	v_mul_f32_e32 v39, v38, v37
	v_fma_f32 v50, -v36, v39, v38
	v_fmac_f32_e32 v39, v50, v37
	v_fma_f32 v36, -v36, v39, v38
	v_div_fmas_f32 v36, v36, v37, v39
	v_div_fixup_f32 v1, v36, v2, -v1
	v_fma_f32 v2, v1, v1, 1.0
	v_mul_f32_e32 v36, 0x4f800000, v2
	v_cmp_gt_f32_e32 vcc, s90, v2
	v_cndmask_b32_e32 v2, v2, v36, vcc
	v_sqrt_f32_e32 v36, v2
	v_add_u32_e32 v37, -1, v36
	v_fma_f32 v39, -v37, v36, v2
	v_add_u32_e32 v38, 1, v36
	v_cmp_ge_f32_e64 s[10:11], 0, v39
	v_cndmask_b32_e64 v37, v36, v37, s[10:11]
	v_fma_f32 v36, -v38, v36, v2
	v_cmp_lt_f32_e64 s[10:11], 0, v36
	v_cndmask_b32_e64 v36, v37, v38, s[10:11]
	v_mul_f32_e32 v37, 0x37800000, v36
	v_cndmask_b32_e32 v36, v36, v37, vcc
	v_cmp_class_f32_e32 vcc, v2, v45
	v_cndmask_b32_e32 v2, v36, v2, vcc
	v_div_scale_f32 v36, s[10:11], v2, v2, 1.0
	v_rcp_f32_e32 v37, v36
	v_fma_f32 v38, -v36, v37, 1.0
	v_fmac_f32_e32 v37, v38, v37
	v_div_scale_f32 v38, vcc, 1.0, v2, 1.0
	v_mul_f32_e32 v39, v38, v37
	v_fma_f32 v50, -v36, v39, v38
	v_fmac_f32_e32 v39, v50, v37
	v_fma_f32 v36, -v36, v39, v38
	v_div_fmas_f32 v36, v36, v37, v39
	v_div_fixup_f32 v37, v36, v2, 1.0
	v_mul_f32_e32 v36, v1, v37
.LBB6_127:                              ;   in Loop: Header=BB6_62 Depth=3
	s_or_b64 exec, exec, s[64:65]
	v_cndmask_b32_e64 v1, 1, -1, s[8:9]
	v_cmp_eq_u32_e32 vcc, v27, v1
	v_cndmask_b32_e32 v1, v37, v36, vcc
	v_cndmask_b32_e64 v2, v36, -v37, vcc
	v_mov_b32_e32 v27, s47
	v_add_co_u32_e32 v32, vcc, s46, v32
	v_addc_co_u32_e32 v33, vcc, v27, v33, vcc
	global_store_dword v[32:33], v2, off
	v_mov_b32_e32 v2, s51
	v_add_co_u32_e32 v32, vcc, s50, v32
	v_addc_co_u32_e32 v33, vcc, v33, v2, vcc
	global_store_dword v[32:33], v1, off offset:-4
	global_store_dwordx2 v[28:29], v[34:35], off
	global_store_dword v[30:31], v3, off
	v_add_u32_e32 v1, 2, v26
	ds_write_b32 v3, v1
	s_or_b64 exec, exec, s[62:63]
                                        ; implicit-def: $vgpr1
.LBB6_128:                              ;   in Loop: Header=BB6_62 Depth=3
	s_andn2_saveexec_b64 s[8:9], s[60:61]
	s_cbranch_execz .LBB6_130
.LBB6_129:                              ;   in Loop: Header=BB6_62 Depth=3
	ds_write_b32 v3, v1
.LBB6_130:                              ;   in Loop: Header=BB6_62 Depth=3
	s_or_b64 exec, exec, s[8:9]
.LBB6_131:                              ;   in Loop: Header=BB6_62 Depth=3
	s_or_b64 exec, exec, s[58:59]
	s_waitcnt lgkmcnt(0)
	s_barrier
	ds_read_b64 v[26:27], v3
	s_waitcnt lgkmcnt(0)
	v_readfirstlane_b32 s8, v27
	v_cmp_eq_u32_e32 vcc, s8, v26
	v_mov_b32_e32 v26, s8
	s_cbranch_vccnz .LBB6_61
; %bb.132:                              ;   in Loop: Header=BB6_62 Depth=3
	s_and_saveexec_b64 s[10:11], s[2:3]
	s_cbranch_execz .LBB6_60
; %bb.133:                              ;   in Loop: Header=BB6_62 Depth=3
	ds_read_b32 v26, v3 offset:16
	v_mov_b32_e32 v2, s88
	s_mov_b64 s[60:61], 0
	s_waitcnt lgkmcnt(0)
	v_mul_lo_u32 v28, v26, s23
	v_readfirstlane_b32 s9, v26
	v_ashrrev_i32_e32 v29, 31, v28
	s_sub_i32 s37, s8, s9
	v_lshlrev_b64 v[28:29], 2, v[28:29]
	s_mul_hi_i32 s9, s37, s26
	s_mul_i32 s8, s37, s26
	v_add_co_u32_e32 v1, vcc, s87, v28
	s_lshl_b64 s[8:9], s[8:9], 2
	v_addc_co_u32_e32 v36, vcc, v2, v29, vcc
	s_cmp_gt_i32 s37, 0
	v_ashrrev_i32_e32 v27, 31, v26
	v_mov_b32_e32 v2, s9
	v_add_co_u32_e32 v37, vcc, s8, v1
	s_cselect_b64 s[58:59], -1, 0
	s_add_i32 s16, s37, -1
	v_addc_co_u32_e32 v38, vcc, v36, v2, vcc
	v_lshlrev_b64 v[26:27], 2, v[26:27]
	s_lshl_b64 s[8:9], s[16:17], 2
	v_mov_b32_e32 v2, s9
	v_add_co_u32_e32 v26, vcc, s8, v26
	v_addc_co_u32_e32 v2, vcc, v27, v2, vcc
	v_mov_b32_e32 v27, s82
	v_add_co_u32_e32 v26, vcc, s33, v26
	s_mul_i32 s8, s29, s16
	s_mul_hi_u32 s9, s28, s16
	v_addc_co_u32_e32 v27, vcc, v27, v2, vcc
	s_add_i32 s8, s9, s8
	s_mul_i32 s9, s28, s16
	v_mov_b32_e32 v2, s8
	v_add_co_u32_e32 v28, vcc, s9, v28
	v_addc_co_u32_e32 v2, vcc, v2, v29, vcc
	v_add_co_u32_e32 v28, vcc, v47, v28
	v_addc_co_u32_e32 v29, vcc, v48, v2, vcc
	v_mov_b32_e32 v2, v0
	s_branch .LBB6_135
.LBB6_134:                              ;   in Loop: Header=BB6_135 Depth=4
	v_add_u32_e32 v2, s15, v2
	v_cmp_le_i32_e32 vcc, s40, v2
	s_waitcnt vmcnt(0) lgkmcnt(0)
	flat_store_dword v[30:31], v39
	v_mov_b32_e32 v30, s93
	s_or_b64 s[60:61], vcc, s[60:61]
	v_add_co_u32_e32 v28, vcc, s92, v28
	v_addc_co_u32_e32 v29, vcc, v29, v30, vcc
	s_andn2_b64 exec, exec, s[60:61]
	s_cbranch_execz .LBB6_60
.LBB6_135:                              ;   Parent Loop BB6_7 Depth=1
                                        ;     Parent Loop BB6_40 Depth=2
                                        ;       Parent Loop BB6_62 Depth=3
                                        ; =>      This Loop Header: Depth=4
                                        ;           Child Loop BB6_136 Depth 5
	v_lshlrev_b64 v[30:31], 2, v[2:3]
	v_add_co_u32_e32 v32, vcc, v37, v30
	v_addc_co_u32_e32 v33, vcc, v38, v31, vcc
	flat_load_dword v39, v[32:33]
	v_add_co_u32_e32 v30, vcc, v1, v30
	v_addc_co_u32_e32 v31, vcc, v36, v31, vcc
	s_andn2_b64 vcc, exec, s[58:59]
	v_pk_mov_b32 v[32:33], v[28:29], v[28:29] op_sel:[0,1]
	v_pk_mov_b32 v[34:35], v[26:27], v[26:27] op_sel:[0,1]
	s_mov_b32 s8, s37
	s_cbranch_vccnz .LBB6_134
.LBB6_136:                              ;   Parent Loop BB6_7 Depth=1
                                        ;     Parent Loop BB6_40 Depth=2
                                        ;       Parent Loop BB6_62 Depth=3
                                        ;         Parent Loop BB6_135 Depth=4
                                        ; =>        This Inner Loop Header: Depth=5
	v_mov_b32_e32 v51, s22
	v_add_co_u32_e32 v50, vcc, s41, v34
	v_addc_co_u32_e32 v51, vcc, v35, v51, vcc
	flat_load_dword v52, v[32:33]
	global_load_dword v53, v[50:51], off
	global_load_dword v54, v[34:35], off
	s_mul_i32 s63, s8, s27
	s_mul_hi_u32 s64, s8, s26
	s_waitcnt vmcnt(0) lgkmcnt(0)
	v_mov_b32_e32 v55, v39
	s_mul_i32 s62, s8, s26
	v_mov_b32_e32 v39, s95
	v_add_co_u32_e32 v32, vcc, s94, v32
	s_add_i32 s63, s64, s63
	v_addc_co_u32_e32 v33, vcc, v33, v39, vcc
	s_lshl_b64 s[62:63], s[62:63], 2
	s_add_i32 s16, s8, -1
	v_add_co_u32_e64 v34, s[8:9], -4, v34
	v_mov_b32_e32 v39, s63
	v_add_co_u32_e32 v50, vcc, s62, v30
	v_addc_co_u32_e64 v35, s[8:9], -1, v35, s[8:9]
	v_addc_co_u32_e32 v51, vcc, v31, v39, vcc
	s_mov_b32 s8, s16
	s_cmp_eq_u32 s16, 0
	v_mul_f32_e32 v39, v54, v52
	v_mul_f32_e32 v52, v53, v52
	v_fmac_f32_e32 v39, v55, v53
	v_fma_f32 v52, v55, v54, -v52
	flat_store_dword v[50:51], v52
	s_cbranch_scc0 .LBB6_136
	s_branch .LBB6_134
.LBB6_137:                              ;   in Loop: Header=BB6_62 Depth=3
	s_or_b64 exec, exec, s[62:63]
                                        ; implicit-def: $vgpr1
	s_andn2_saveexec_b64 s[8:9], s[60:61]
	s_cbranch_execnz .LBB6_129
	s_branch .LBB6_130
.LBB6_138:                              ;   in Loop: Header=BB6_40 Depth=2
	v_pk_mov_b32 v[24:25], v[16:17], v[16:17] op_sel:[0,1]
	v_pk_mov_b32 v[20:21], v[14:15], v[14:15] op_sel:[0,1]
	v_mov_b32_e32 v19, v49
	s_branch .LBB6_157
.LBB6_139:                              ;   in Loop: Header=BB6_40 Depth=2
                                        ; implicit-def: $vgpr24_vgpr25
                                        ; implicit-def: $vgpr20_vgpr21
                                        ; implicit-def: $vgpr19
.LBB6_140:                              ;   in Loop: Header=BB6_40 Depth=2
	s_and_b64 vcc, exec, s[4:5]
	s_cbranch_vccz .LBB6_161
.LBB6_141:                              ;   in Loop: Header=BB6_40 Depth=2
	v_mov_b32_e32 v19, v49
	v_pk_mov_b32 v[20:21], v[14:15], v[14:15] op_sel:[0,1]
	v_pk_mov_b32 v[24:25], v[16:17], v[16:17] op_sel:[0,1]
.LBB6_142:                              ;   in Loop: Header=BB6_40 Depth=2
	s_barrier
	ds_read_b32 v18, v3 offset:24
	s_waitcnt lgkmcnt(0)
	v_cmp_nlt_f32_e32 vcc, s14, v18
	s_cbranch_vccnz .LBB6_149
; %bb.143:                              ;   in Loop: Header=BB6_40 Depth=2
	v_div_scale_f32 v1, s[4:5], v18, v18, s14
	v_rcp_f32_e32 v2, v1
	ds_read2_b32 v[14:15], v3 offset0:4 offset1:8
	v_fma_f32 v16, -v1, v2, 1.0
	v_fmac_f32_e32 v2, v16, v2
	v_div_scale_f32 v16, vcc, s14, v18, s14
	v_mul_f32_e32 v17, v16, v2
	v_fma_f32 v22, -v1, v17, v16
	v_fmac_f32_e32 v17, v22, v2
	v_fma_f32 v1, -v1, v17, v16
	v_div_fmas_f32 v1, v1, v2, v17
	v_div_fixup_f32 v22, v1, v18, s14
	s_and_saveexec_b64 s[4:5], s[0:1]
	s_cbranch_execz .LBB6_145
; %bb.144:                              ;   in Loop: Header=BB6_40 Depth=2
	s_waitcnt lgkmcnt(0)
	v_ashrrev_i32_e32 v17, 31, v15
	v_mov_b32_e32 v16, v15
	v_lshlrev_b64 v[16:17], 2, v[16:17]
	v_mov_b32_e32 v1, s45
	v_add_co_u32_e32 v16, vcc, s44, v16
	v_addc_co_u32_e32 v17, vcc, v1, v17, vcc
	global_load_dword v1, v[16:17], off
	s_waitcnt vmcnt(0)
	v_mul_f32_e32 v1, v22, v1
	global_store_dword v[16:17], v1, off
.LBB6_145:                              ;   in Loop: Header=BB6_40 Depth=2
	s_or_b64 exec, exec, s[4:5]
	s_waitcnt lgkmcnt(0)
	v_add_u32_e32 v16, v14, v0
	v_cmp_lt_i32_e32 vcc, v16, v15
	s_and_saveexec_b64 s[4:5], vcc
	s_cbranch_execz .LBB6_148
; %bb.146:                              ;   in Loop: Header=BB6_40 Depth=2
	v_ashrrev_i32_e32 v17, 31, v16
	v_lshlrev_b64 v[26:27], 2, v[16:17]
	v_mov_b32_e32 v1, s43
	v_add_co_u32_e32 v2, vcc, s42, v26
	v_addc_co_u32_e32 v1, vcc, v1, v27, vcc
	s_mov_b64 s[8:9], 0
.LBB6_147:                              ;   Parent Loop BB6_7 Depth=1
                                        ;     Parent Loop BB6_40 Depth=2
                                        ; =>    This Inner Loop Header: Depth=3
	v_mov_b32_e32 v14, s84
	v_add_co_u32_e32 v26, vcc, s83, v2
	v_addc_co_u32_e32 v27, vcc, v14, v1, vcc
	global_load_dword v14, v[26:27], off
	v_mov_b32_e32 v17, s86
	v_add_co_u32_e32 v28, vcc, s85, v2
	v_addc_co_u32_e32 v29, vcc, v17, v1, vcc
	v_mov_b32_e32 v17, s93
	v_add_co_u32_e32 v2, vcc, s92, v2
	v_add_u32_e32 v16, s15, v16
	v_addc_co_u32_e32 v1, vcc, v1, v17, vcc
	v_cmp_ge_i32_e32 vcc, v16, v15
	s_or_b64 s[8:9], vcc, s[8:9]
	s_waitcnt vmcnt(0)
	v_mul_f32_e32 v14, v22, v14
	global_store_dword v[26:27], v14, off
	global_load_dword v14, v[28:29], off
	s_waitcnt vmcnt(0)
	v_mul_f32_e32 v14, v22, v14
	global_store_dword v[28:29], v14, off
	s_andn2_b64 exec, exec, s[8:9]
	s_cbranch_execnz .LBB6_147
.LBB6_148:                              ;   in Loop: Header=BB6_40 Depth=2
	s_or_b64 exec, exec, s[4:5]
.LBB6_149:                              ;   in Loop: Header=BB6_40 Depth=2
	v_cmp_ngt_f32_e32 vcc, s13, v18
	s_cbranch_vccnz .LBB6_156
; %bb.150:                              ;   in Loop: Header=BB6_40 Depth=2
	v_div_scale_f32 v1, s[4:5], v18, v18, s13
	v_rcp_f32_e32 v2, v1
	ds_read2_b32 v[14:15], v3 offset0:4 offset1:8
	v_fma_f32 v16, -v1, v2, 1.0
	v_fmac_f32_e32 v2, v16, v2
	v_div_scale_f32 v16, vcc, s13, v18, s13
	v_mul_f32_e32 v17, v16, v2
	v_fma_f32 v22, -v1, v17, v16
	v_fmac_f32_e32 v17, v22, v2
	v_fma_f32 v1, -v1, v17, v16
	v_div_fmas_f32 v1, v1, v2, v17
	v_div_fixup_f32 v18, v1, v18, s13
	s_and_saveexec_b64 s[4:5], s[0:1]
	s_cbranch_execz .LBB6_152
; %bb.151:                              ;   in Loop: Header=BB6_40 Depth=2
	s_waitcnt lgkmcnt(0)
	v_ashrrev_i32_e32 v17, 31, v15
	v_mov_b32_e32 v16, v15
	v_lshlrev_b64 v[16:17], 2, v[16:17]
	v_mov_b32_e32 v1, s45
	v_add_co_u32_e32 v16, vcc, s44, v16
	v_addc_co_u32_e32 v17, vcc, v1, v17, vcc
	global_load_dword v1, v[16:17], off
	s_waitcnt vmcnt(0)
	v_mul_f32_e32 v1, v18, v1
	global_store_dword v[16:17], v1, off
.LBB6_152:                              ;   in Loop: Header=BB6_40 Depth=2
	s_or_b64 exec, exec, s[4:5]
	s_waitcnt lgkmcnt(0)
	v_add_u32_e32 v16, v14, v0
	v_cmp_lt_i32_e32 vcc, v16, v15
	s_and_saveexec_b64 s[4:5], vcc
	s_cbranch_execz .LBB6_155
; %bb.153:                              ;   in Loop: Header=BB6_40 Depth=2
	v_ashrrev_i32_e32 v17, 31, v16
	v_lshlrev_b64 v[22:23], 2, v[16:17]
	v_mov_b32_e32 v1, s43
	v_add_co_u32_e32 v2, vcc, s42, v22
	v_addc_co_u32_e32 v1, vcc, v1, v23, vcc
	s_mov_b64 s[8:9], 0
.LBB6_154:                              ;   Parent Loop BB6_7 Depth=1
                                        ;     Parent Loop BB6_40 Depth=2
                                        ; =>    This Inner Loop Header: Depth=3
	v_mov_b32_e32 v14, s84
	v_add_co_u32_e32 v22, vcc, s83, v2
	v_addc_co_u32_e32 v23, vcc, v14, v1, vcc
	global_load_dword v14, v[22:23], off
	v_mov_b32_e32 v17, s86
	v_add_co_u32_e32 v26, vcc, s85, v2
	v_addc_co_u32_e32 v27, vcc, v17, v1, vcc
	v_mov_b32_e32 v17, s93
	v_add_co_u32_e32 v2, vcc, s92, v2
	v_add_u32_e32 v16, s15, v16
	v_addc_co_u32_e32 v1, vcc, v1, v17, vcc
	v_cmp_ge_i32_e32 vcc, v16, v15
	s_or_b64 s[8:9], vcc, s[8:9]
	s_waitcnt vmcnt(0)
	v_mul_f32_e32 v14, v18, v14
	global_store_dword v[22:23], v14, off
	global_load_dword v14, v[26:27], off
	s_waitcnt vmcnt(0)
	v_mul_f32_e32 v14, v18, v14
	global_store_dword v[26:27], v14, off
	s_andn2_b64 exec, exec, s[8:9]
	s_cbranch_execnz .LBB6_154
.LBB6_155:                              ;   in Loop: Header=BB6_40 Depth=2
	s_or_b64 exec, exec, s[4:5]
.LBB6_156:                              ;   in Loop: Header=BB6_40 Depth=2
	s_barrier
.LBB6_157:                              ;   in Loop: Header=BB6_40 Depth=2
	ds_read2_b32 v[14:15], v3 offset0:3 offset1:7
	s_waitcnt lgkmcnt(0)
	v_cmp_gt_i32_e32 vcc, s40, v14
	v_cmp_gt_i32_e64 s[4:5], s25, v15
	s_and_b64 s[4:5], vcc, s[4:5]
	s_andn2_b64 vcc, exec, s[4:5]
	v_readfirstlane_b32 s10, v14
	s_cbranch_vccnz .LBB6_238
; %bb.158:                              ;   in Loop: Header=BB6_40 Depth=2
	v_mov_b32_e32 v49, v19
	v_pk_mov_b32 v[14:15], v[20:21], v[20:21] op_sel:[0,1]
	v_pk_mov_b32 v[16:17], v[24:25], v[24:25] op_sel:[0,1]
	s_and_saveexec_b64 s[58:59], s[0:1]
	s_cbranch_execnz .LBB6_17
	s_branch .LBB6_40
.LBB6_159:                              ;   in Loop: Header=BB6_161 Depth=3
	s_or_b64 exec, exec, s[4:5]
	s_waitcnt lgkmcnt(0)
	s_barrier
	ds_read_b32 v18, v3
.LBB6_160:                              ;   in Loop: Header=BB6_161 Depth=3
	ds_read2_b32 v[22:23], v3 offset0:5 offset1:7
	s_waitcnt lgkmcnt(0)
	v_cmp_ge_i32_e32 vcc, v18, v22
	v_cmp_gt_i32_e64 s[4:5], s25, v23
	s_and_b64 s[4:5], vcc, s[4:5]
	s_andn2_b64 vcc, exec, s[4:5]
	s_cbranch_vccnz .LBB6_141
.LBB6_161:                              ;   Parent Loop BB6_7 Depth=1
                                        ;     Parent Loop BB6_40 Depth=2
                                        ; =>    This Loop Header: Depth=3
                                        ;         Child Loop BB6_169 Depth 4
                                        ;         Child Loop BB6_188 Depth 4
	;; [unrolled: 1-line block ×3, first 2 shown]
                                        ;           Child Loop BB6_235 Depth 5
	s_and_saveexec_b64 s[10:11], s[0:1]
	s_cbranch_execz .LBB6_230
; %bb.162:                              ;   in Loop: Header=BB6_161 Depth=3
	v_cmp_gt_i32_e32 vcc, v18, v22
	s_mov_b64 s[4:5], 0
	s_cbranch_vccnz .LBB6_166
; %bb.163:                              ;   in Loop: Header=BB6_161 Depth=3
	v_ashrrev_i32_e32 v19, 31, v18
	s_mov_b64 s[8:9], -1
	v_pk_mov_b32 v[20:21], v[18:19], v[18:19] op_sel:[0,1]
	v_mov_b32_e32 v24, v18
	s_cbranch_execz .LBB6_167
; %bb.164:                              ;   in Loop: Header=BB6_161 Depth=3
	s_and_b64 vcc, exec, s[8:9]
	s_cbranch_vccz .LBB6_172
.LBB6_165:                              ;   in Loop: Header=BB6_161 Depth=3
	ds_write2_b32 v3, v24, v18 offset0:1 offset1:4
	s_cbranch_execz .LBB6_173
	s_branch .LBB6_174
.LBB6_166:                              ;   in Loop: Header=BB6_161 Depth=3
                                        ; implicit-def: $vgpr20_vgpr21
	s_mov_b64 s[8:9], 0
	v_mov_b32_e32 v24, v18
.LBB6_167:                              ;   in Loop: Header=BB6_161 Depth=3
	v_ashrrev_i32_e32 v19, 31, v18
	v_lshlrev_b64 v[4:5], 2, v[18:19]
	v_mov_b32_e32 v1, s53
	v_add_co_u32_e32 v6, vcc, s52, v4
	v_addc_co_u32_e32 v7, vcc, v1, v5, vcc
	v_mov_b32_e32 v1, s31
	v_add_co_u32_e32 v20, vcc, s30, v4
	v_addc_co_u32_e32 v21, vcc, v1, v5, vcc
	v_mov_b32_e32 v1, v18
	s_branch .LBB6_169
.LBB6_168:                              ;   in Loop: Header=BB6_169 Depth=4
	v_add_u32_e32 v1, -1, v46
	v_add_co_u32_e32 v6, vcc, -4, v6
	v_addc_co_u32_e32 v7, vcc, -1, v7, vcc
	s_mov_b64 s[4:5], 0
	v_cmp_le_i32_e64 s[8:9], v1, v22
	s_andn2_b64 vcc, exec, s[8:9]
	v_pk_mov_b32 v[20:21], v[4:5], v[4:5] op_sel:[0,1]
	s_cbranch_vccz .LBB6_171
.LBB6_169:                              ;   Parent Loop BB6_7 Depth=1
                                        ;     Parent Loop BB6_40 Depth=2
                                        ;       Parent Loop BB6_161 Depth=3
                                        ; =>      This Inner Loop Header: Depth=4
	global_load_dword v2, v[20:21], off offset:-4
	global_load_dwordx2 v[24:25], v[6:7], off
	v_mov_b32_e32 v46, v1
	v_add_co_u32_e32 v4, vcc, -4, v20
	v_addc_co_u32_e32 v5, vcc, -1, v21, vcc
	s_waitcnt vmcnt(0)
	v_mul_f32_e32 v1, v2, v2
	v_mul_f32_e32 v2, v25, v24
	v_mul_f32_e64 v2, v40, |v2|
	v_cmp_le_f32_e64 s[4:5], |v1|, v2
	s_and_b64 vcc, exec, s[4:5]
	s_cbranch_vccz .LBB6_168
; %bb.170:                              ;   in Loop: Header=BB6_161 Depth=3
	s_mov_b64 s[4:5], -1
                                        ; implicit-def: $vgpr1
                                        ; implicit-def: $vgpr6_vgpr7
	v_pk_mov_b32 v[20:21], v[4:5], v[4:5] op_sel:[0,1]
.LBB6_171:                              ;   in Loop: Header=BB6_161 Depth=3
	s_xor_b64 s[8:9], s[4:5], -1
	s_mov_b64 s[4:5], -1
	v_pk_mov_b32 v[6:7], v[18:19], v[18:19] op_sel:[0,1]
	v_mov_b32_e32 v24, v22
	v_pk_mov_b32 v[20:21], v[18:19], v[18:19] op_sel:[0,1]
	s_and_b64 vcc, exec, s[8:9]
	s_cbranch_vccnz .LBB6_165
.LBB6_172:                              ;   in Loop: Header=BB6_161 Depth=3
                                        ; implicit-def: $vgpr24
                                        ; implicit-def: $vgpr20_vgpr21
	s_andn2_b64 vcc, exec, s[4:5]
	s_cbranch_vccnz .LBB6_174
.LBB6_173:                              ;   in Loop: Header=BB6_161 Depth=3
	v_pk_mov_b32 v[20:21], v[6:7], v[6:7] op_sel:[0,1]
	v_mov_b32_e32 v24, v46
	ds_write2_b32 v3, v46, v18 offset0:1 offset1:4
	global_store_dword v[4:5], v3, off
.LBB6_174:                              ;   in Loop: Header=BB6_161 Depth=3
	v_lshlrev_b64 v[26:27], 2, v[20:21]
	v_mov_b32_e32 v1, s45
	v_add_co_u32_e32 v20, vcc, s44, v26
	v_addc_co_u32_e32 v21, vcc, v1, v27, vcc
	global_load_dword v19, v[20:21], off
	v_cmp_ne_u32_e32 vcc, v24, v18
	v_add_u32_e32 v1, -1, v18
	s_waitcnt vmcnt(0)
	ds_write_b32 v3, v19 offset:8
	s_and_saveexec_b64 s[4:5], vcc
	s_xor_b64 s[58:59], exec, s[4:5]
	s_cbranch_execz .LBB6_227
; %bb.175:                              ;   in Loop: Header=BB6_161 Depth=3
	v_cmp_ne_u32_e32 vcc, v24, v1
	s_and_saveexec_b64 s[4:5], vcc
	s_xor_b64 s[60:61], exec, s[4:5]
	s_cbranch_execz .LBB6_203
; %bb.176:                              ;   in Loop: Header=BB6_161 Depth=3
	v_mov_b32_e32 v2, s21
	v_add_co_u32_e32 v26, vcc, s20, v26
	v_addc_co_u32_e32 v27, vcc, v2, v27, vcc
	global_load_dword v1, v[20:21], off offset:-4
	global_load_dword v2, v[26:27], off
	v_ashrrev_i32_e32 v25, 31, v24
	v_lshlrev_b64 v[30:31], 2, v[24:25]
	v_mov_b32_e32 v22, s45
	v_add_co_u32_e32 v28, vcc, s44, v30
	v_addc_co_u32_e32 v29, vcc, v22, v31, vcc
	global_load_dword v25, v[28:29], off
	v_add_u32_e32 v23, 1, v23
	ds_write2_b32 v3, v3, v23 offset0:2 offset1:7
	s_waitcnt vmcnt(2)
	v_sub_f32_e32 v1, v1, v19
	s_waitcnt vmcnt(1)
	v_add_f32_e32 v22, v2, v2
	v_div_scale_f32 v32, s[4:5], v22, v22, v1
	v_rcp_f32_e32 v33, v32
	v_div_scale_f32 v34, vcc, v1, v22, v1
	v_cmp_lt_i32_e64 s[4:5], v24, v18
	v_fma_f32 v35, -v32, v33, 1.0
	v_fmac_f32_e32 v33, v35, v33
	v_mul_f32_e32 v35, v34, v33
	v_fma_f32 v36, -v32, v35, v34
	v_fmac_f32_e32 v35, v36, v33
	v_fma_f32 v32, -v32, v35, v34
	v_div_fmas_f32 v32, v32, v33, v35
	v_div_fixup_f32 v1, v32, v22, v1
	v_fma_f32 v22, v1, v1, 1.0
	v_mul_f32_e32 v32, 0x4f800000, v22
	v_cmp_gt_f32_e32 vcc, s90, v22
	v_cndmask_b32_e32 v22, v22, v32, vcc
	v_sqrt_f32_e32 v32, v22
	v_add_u32_e32 v23, -1, v32
	v_add_u32_e32 v33, 1, v32
	v_fma_f32 v34, -v23, v32, v22
	v_fma_f32 v35, -v33, v32, v22
	v_cmp_ge_f32_e64 s[8:9], 0, v34
	v_cndmask_b32_e64 v23, v32, v23, s[8:9]
	v_cmp_lt_f32_e64 s[8:9], 0, v35
	v_cndmask_b32_e64 v23, v23, v33, s[8:9]
	v_mul_f32_e32 v32, 0x37800000, v23
	v_cndmask_b32_e32 v23, v23, v32, vcc
	v_cmp_class_f32_e32 vcc, v22, v45
	v_cndmask_b32_e32 v22, v23, v22, vcc
	v_cmp_nle_f32_e32 vcc, 0, v1
	v_cndmask_b32_e64 v22, |v22|, -|v22|, vcc
	v_add_f32_e32 v1, v1, v22
	v_div_scale_f32 v22, s[8:9], v1, v1, v2
	v_rcp_f32_e32 v23, v22
	v_div_scale_f32 v33, vcc, v2, v1, v2
	s_waitcnt vmcnt(0)
	v_sub_f32_e32 v32, v25, v19
	v_fma_f32 v34, -v22, v23, 1.0
	v_fmac_f32_e32 v23, v34, v23
	v_mul_f32_e32 v34, v33, v23
	v_fma_f32 v35, -v22, v34, v33
	v_fmac_f32_e32 v34, v35, v23
	v_fma_f32 v22, -v22, v34, v33
	v_div_fmas_f32 v22, v22, v23, v34
	v_div_fixup_f32 v1, v22, v1, v2
	v_add_f32_e32 v1, v32, v1
	v_mov_b32_e32 v2, 0
	s_and_saveexec_b64 s[8:9], s[4:5]
	s_cbranch_execz .LBB6_202
; %bb.177:                              ;   in Loop: Header=BB6_161 Depth=3
	v_mov_b32_e32 v2, s89
	v_add_co_u32_e32 v22, vcc, s7, v30
	v_addc_co_u32_e32 v23, vcc, v2, v31, vcc
	global_load_dword v23, v[22:23], off
	v_mov_b32_e32 v19, 1.0
	v_mov_b32_e32 v32, 0
	s_waitcnt vmcnt(0)
	v_cmp_neq_f32_e32 vcc, 0, v23
	s_and_saveexec_b64 s[62:63], vcc
	s_cbranch_execz .LBB6_185
; %bb.178:                              ;   in Loop: Header=BB6_161 Depth=3
	v_cmp_neq_f32_e32 vcc, 0, v1
	v_mov_b32_e32 v32, 1.0
	v_mov_b32_e32 v19, 0
	s_and_saveexec_b64 s[64:65], vcc
	s_cbranch_execz .LBB6_184
; %bb.179:                              ;   in Loop: Header=BB6_161 Depth=3
	v_cmp_ngt_f32_e64 s[4:5], |v23|, |v1|
                                        ; implicit-def: $vgpr32
                                        ; implicit-def: $vgpr19
	s_and_saveexec_b64 s[66:67], s[4:5]
	s_xor_b64 s[66:67], exec, s[66:67]
	s_cbranch_execz .LBB6_181
; %bb.180:                              ;   in Loop: Header=BB6_161 Depth=3
	v_div_scale_f32 v2, s[4:5], v1, v1, -v23
	v_rcp_f32_e32 v19, v2
	v_div_scale_f32 v22, vcc, -v23, v1, -v23
	v_fma_f32 v32, -v2, v19, 1.0
	v_fmac_f32_e32 v19, v32, v19
	v_mul_f32_e32 v32, v22, v19
	v_fma_f32 v33, -v2, v32, v22
	v_fmac_f32_e32 v32, v33, v19
	v_fma_f32 v2, -v2, v32, v22
	v_div_fmas_f32 v2, v2, v19, v32
	v_div_fixup_f32 v1, v2, v1, -v23
	v_fma_f32 v2, v1, v1, 1.0
	v_mul_f32_e32 v19, 0x4f800000, v2
	v_cmp_gt_f32_e32 vcc, s90, v2
	v_cndmask_b32_e32 v2, v2, v19, vcc
	v_sqrt_f32_e32 v19, v2
	v_add_u32_e32 v22, -1, v19
	v_fma_f32 v33, -v22, v19, v2
	v_add_u32_e32 v32, 1, v19
	v_cmp_ge_f32_e64 s[4:5], 0, v33
	v_cndmask_b32_e64 v22, v19, v22, s[4:5]
	v_fma_f32 v19, -v32, v19, v2
	v_cmp_lt_f32_e64 s[4:5], 0, v19
	v_cndmask_b32_e64 v19, v22, v32, s[4:5]
	v_mul_f32_e32 v22, 0x37800000, v19
	v_cndmask_b32_e32 v19, v19, v22, vcc
	v_cmp_class_f32_e32 vcc, v2, v45
	v_cndmask_b32_e32 v2, v19, v2, vcc
	v_div_scale_f32 v19, s[4:5], v2, v2, 1.0
	v_rcp_f32_e32 v22, v19
	v_fma_f32 v32, -v19, v22, 1.0
	v_fmac_f32_e32 v22, v32, v22
	v_div_scale_f32 v32, vcc, 1.0, v2, 1.0
	v_mul_f32_e32 v33, v32, v22
	v_fma_f32 v34, -v19, v33, v32
	v_fmac_f32_e32 v33, v34, v22
	v_fma_f32 v19, -v19, v33, v32
	v_div_fmas_f32 v19, v19, v22, v33
	v_div_fixup_f32 v19, v19, v2, 1.0
	v_mul_f32_e32 v32, v1, v19
                                        ; implicit-def: $vgpr1
.LBB6_181:                              ;   in Loop: Header=BB6_161 Depth=3
	s_andn2_saveexec_b64 s[66:67], s[66:67]
	s_cbranch_execz .LBB6_183
; %bb.182:                              ;   in Loop: Header=BB6_161 Depth=3
	v_div_scale_f32 v2, s[4:5], v23, v23, -v1
	v_rcp_f32_e32 v19, v2
	v_div_scale_f32 v22, vcc, -v1, v23, -v1
	v_fma_f32 v32, -v2, v19, 1.0
	v_fmac_f32_e32 v19, v32, v19
	v_mul_f32_e32 v32, v22, v19
	v_fma_f32 v33, -v2, v32, v22
	v_fmac_f32_e32 v32, v33, v19
	v_fma_f32 v2, -v2, v32, v22
	v_div_fmas_f32 v2, v2, v19, v32
	v_div_fixup_f32 v1, v2, v23, -v1
	v_fma_f32 v2, v1, v1, 1.0
	v_mul_f32_e32 v19, 0x4f800000, v2
	v_cmp_gt_f32_e32 vcc, s90, v2
	v_cndmask_b32_e32 v2, v2, v19, vcc
	v_sqrt_f32_e32 v19, v2
	v_add_u32_e32 v22, -1, v19
	v_fma_f32 v33, -v22, v19, v2
	v_add_u32_e32 v32, 1, v19
	v_cmp_ge_f32_e64 s[4:5], 0, v33
	v_cndmask_b32_e64 v22, v19, v22, s[4:5]
	v_fma_f32 v19, -v32, v19, v2
	v_cmp_lt_f32_e64 s[4:5], 0, v19
	v_cndmask_b32_e64 v19, v22, v32, s[4:5]
	v_mul_f32_e32 v22, 0x37800000, v19
	v_cndmask_b32_e32 v19, v19, v22, vcc
	v_cmp_class_f32_e32 vcc, v2, v45
	v_cndmask_b32_e32 v2, v19, v2, vcc
	v_div_scale_f32 v19, s[4:5], v2, v2, 1.0
	v_rcp_f32_e32 v22, v19
	v_fma_f32 v32, -v19, v22, 1.0
	v_fmac_f32_e32 v22, v32, v22
	v_div_scale_f32 v32, vcc, 1.0, v2, 1.0
	v_mul_f32_e32 v33, v32, v22
	v_fma_f32 v34, -v19, v33, v32
	v_fmac_f32_e32 v33, v34, v22
	v_fma_f32 v19, -v19, v33, v32
	v_div_fmas_f32 v19, v19, v22, v33
	v_div_fixup_f32 v32, v19, v2, 1.0
	v_mul_f32_e32 v19, v1, v32
.LBB6_183:                              ;   in Loop: Header=BB6_161 Depth=3
	s_or_b64 exec, exec, s[66:67]
.LBB6_184:                              ;   in Loop: Header=BB6_161 Depth=3
	s_or_b64 exec, exec, s[64:65]
.LBB6_185:                              ;   in Loop: Header=BB6_161 Depth=3
	s_or_b64 exec, exec, s[62:63]
	global_load_dword v1, v[28:29], off offset:4
	v_mov_b32_e32 v34, s47
	v_add_co_u32_e32 v30, vcc, s46, v30
	v_addc_co_u32_e32 v31, vcc, v34, v31, vcc
	v_add_f32_e32 v2, v19, v19
	v_mov_b32_e32 v35, s51
	v_add_co_u32_e32 v34, vcc, s50, v30
	v_add_u32_e32 v22, 1, v24
	v_addc_co_u32_e32 v35, vcc, v31, v35, vcc
	v_xor_b32_e32 v33, 0x80000000, v32
	v_cmp_lt_i32_e32 vcc, v22, v18
	s_waitcnt vmcnt(0)
	v_sub_f32_e32 v1, v1, v25
	v_mul_f32_e32 v1, v32, v1
	v_fma_f32 v1, v23, v2, -v1
	v_mul_f32_e64 v2, v1, -v32
	v_fma_f32 v25, v1, -v32, v25
	v_fma_f32 v1, v19, v1, -v23
	ds_write_b32 v3, v2 offset:8
	global_store_dword v[28:29], v25, off
	global_store_dword v[30:31], v19, off
	global_store_dword v[34:35], v33, off offset:-4
	s_and_saveexec_b64 s[62:63], vcc
	s_cbranch_execz .LBB6_201
; %bb.186:                              ;   in Loop: Header=BB6_161 Depth=3
	v_ashrrev_i32_e32 v23, 31, v22
	v_lshlrev_b64 v[22:23], 2, v[22:23]
	s_mov_b32 s16, 1
	s_mov_b64 s[64:65], 0
	s_mov_b64 s[66:67], s[44:45]
	s_mov_b64 s[68:69], s[56:57]
	s_mov_b64 s[70:71], s[54:55]
	s_mov_b64 s[72:73], s[46:47]
	s_branch .LBB6_188
.LBB6_187:                              ;   in Loop: Header=BB6_188 Depth=4
	v_mov_b32_e32 v1, s67
	v_add_co_u32_e32 v28, vcc, s66, v22
	v_addc_co_u32_e32 v29, vcc, v1, v23, vcc
	global_load_dwordx2 v[34:35], v[28:29], off
	s_add_i32 s16, s16, 1
	v_mul_f32_e32 v1, v19, v25
	v_mov_b32_e32 v25, s73
	v_add_co_u32_e32 v36, vcc, s72, v22
	s_add_u32 s72, s72, 4
	v_addc_co_u32_e32 v37, vcc, v25, v23, vcc
	s_addc_u32 s73, s73, 0
	v_mov_b32_e32 v31, s69
	v_add_co_u32_e32 v38, vcc, s68, v22
	s_add_u32 s70, s70, 4
	v_addc_co_u32_e32 v39, vcc, v31, v23, vcc
	v_add_u32_e32 v25, s16, v24
	s_addc_u32 s71, s71, 0
	v_cmp_ge_i32_e32 vcc, v25, v18
	s_add_u32 s68, s68, 4
	s_addc_u32 s69, s69, 0
	v_add_f32_e32 v19, v30, v30
	s_add_u32 s66, s66, 4
	s_addc_u32 s67, s67, 0
	v_xor_b32_e32 v33, 0x80000000, v32
	s_or_b64 s[64:65], vcc, s[64:65]
	s_waitcnt vmcnt(0)
	v_sub_f32_e32 v25, v34, v2
	v_sub_f32_e32 v2, v35, v25
	v_mul_f32_e32 v2, v32, v2
	v_fma_f32 v19, v1, v19, -v2
	v_mul_f32_e64 v2, v19, -v32
	v_fma_f32 v25, v19, -v32, v25
	v_fma_f32 v1, v30, v19, -v1
	v_mov_b32_e32 v19, v30
	global_store_dword v[28:29], v25, off
	global_store_dword v[36:37], v30, off
	;; [unrolled: 1-line block ×3, first 2 shown]
	s_andn2_b64 exec, exec, s[64:65]
	s_cbranch_execz .LBB6_200
.LBB6_188:                              ;   Parent Loop BB6_7 Depth=1
                                        ;     Parent Loop BB6_40 Depth=2
                                        ;       Parent Loop BB6_161 Depth=3
                                        ; =>      This Inner Loop Header: Depth=4
	v_mov_b32_e32 v25, s71
	v_add_co_u32_e32 v28, vcc, s70, v22
	v_addc_co_u32_e32 v29, vcc, v25, v23, vcc
	global_load_dword v25, v[28:29], off offset:4
	v_mov_b32_e32 v30, 1.0
	v_mov_b32_e32 v32, 0
	s_waitcnt vmcnt(0)
	v_mul_f32_e32 v31, v33, v25
	v_cmp_neq_f32_e32 vcc, 0, v31
	s_and_saveexec_b64 s[74:75], vcc
	s_cbranch_execz .LBB6_198
; %bb.189:                              ;   in Loop: Header=BB6_188 Depth=4
	v_cmp_neq_f32_e32 vcc, 0, v1
                                        ; implicit-def: $vgpr32
                                        ; implicit-def: $vgpr30
	s_and_saveexec_b64 s[4:5], vcc
	s_xor_b64 s[76:77], exec, s[4:5]
	s_cbranch_execz .LBB6_195
; %bb.190:                              ;   in Loop: Header=BB6_188 Depth=4
	v_cmp_ngt_f32_e64 s[4:5], |v31|, |v1|
                                        ; implicit-def: $vgpr32
                                        ; implicit-def: $vgpr30
	s_and_saveexec_b64 s[78:79], s[4:5]
	s_xor_b64 s[78:79], exec, s[78:79]
	s_cbranch_execz .LBB6_192
; %bb.191:                              ;   in Loop: Header=BB6_188 Depth=4
	v_div_scale_f32 v30, s[4:5], v1, v1, -v31
	v_rcp_f32_e32 v32, v30
	v_div_scale_f32 v33, vcc, -v31, v1, -v31
	v_fma_f32 v34, -v30, v32, 1.0
	v_fmac_f32_e32 v32, v34, v32
	v_mul_f32_e32 v34, v33, v32
	v_fma_f32 v35, -v30, v34, v33
	v_fmac_f32_e32 v34, v35, v32
	v_fma_f32 v30, -v30, v34, v33
	v_div_fmas_f32 v30, v30, v32, v34
	v_div_fixup_f32 v32, v30, v1, -v31
	v_fma_f32 v30, v32, v32, 1.0
	v_mul_f32_e32 v33, 0x4f800000, v30
	v_cmp_gt_f32_e32 vcc, s90, v30
	v_cndmask_b32_e32 v30, v30, v33, vcc
	v_sqrt_f32_e32 v33, v30
	v_add_u32_e32 v34, -1, v33
	v_fma_f32 v36, -v34, v33, v30
	v_add_u32_e32 v35, 1, v33
	v_cmp_ge_f32_e64 s[4:5], 0, v36
	v_cndmask_b32_e64 v34, v33, v34, s[4:5]
	v_fma_f32 v33, -v35, v33, v30
	v_cmp_lt_f32_e64 s[4:5], 0, v33
	v_cndmask_b32_e64 v33, v34, v35, s[4:5]
	v_mul_f32_e32 v34, 0x37800000, v33
	v_cndmask_b32_e32 v33, v33, v34, vcc
	v_cmp_class_f32_e32 vcc, v30, v45
	v_cndmask_b32_e32 v30, v33, v30, vcc
	v_div_scale_f32 v33, s[4:5], v30, v30, 1.0
	v_rcp_f32_e32 v34, v33
	v_fma_f32 v35, -v33, v34, 1.0
	v_fmac_f32_e32 v34, v35, v34
	v_div_scale_f32 v35, vcc, 1.0, v30, 1.0
	v_mul_f32_e32 v36, v35, v34
	v_fma_f32 v37, -v33, v36, v35
	v_fmac_f32_e32 v36, v37, v34
	v_fma_f32 v33, -v33, v36, v35
	v_div_fmas_f32 v33, v33, v34, v36
	v_div_fixup_f32 v30, v33, v30, 1.0
	v_mul_f32_e32 v32, v32, v30
.LBB6_192:                              ;   in Loop: Header=BB6_188 Depth=4
	s_andn2_saveexec_b64 s[78:79], s[78:79]
	s_cbranch_execz .LBB6_194
; %bb.193:                              ;   in Loop: Header=BB6_188 Depth=4
	v_div_scale_f32 v30, s[4:5], v31, v31, -v1
	v_rcp_f32_e32 v32, v30
	v_div_scale_f32 v33, vcc, -v1, v31, -v1
	v_fma_f32 v34, -v30, v32, 1.0
	v_fmac_f32_e32 v32, v34, v32
	v_mul_f32_e32 v34, v33, v32
	v_fma_f32 v35, -v30, v34, v33
	v_fmac_f32_e32 v34, v35, v32
	v_fma_f32 v30, -v30, v34, v33
	v_div_fmas_f32 v30, v30, v32, v34
	v_div_fixup_f32 v30, v30, v31, -v1
	v_fma_f32 v32, v30, v30, 1.0
	v_mul_f32_e32 v33, 0x4f800000, v32
	v_cmp_gt_f32_e32 vcc, s90, v32
	v_cndmask_b32_e32 v32, v32, v33, vcc
	v_sqrt_f32_e32 v33, v32
	v_add_u32_e32 v34, -1, v33
	v_fma_f32 v36, -v34, v33, v32
	v_add_u32_e32 v35, 1, v33
	v_cmp_ge_f32_e64 s[4:5], 0, v36
	v_cndmask_b32_e64 v34, v33, v34, s[4:5]
	v_fma_f32 v33, -v35, v33, v32
	v_cmp_lt_f32_e64 s[4:5], 0, v33
	v_cndmask_b32_e64 v33, v34, v35, s[4:5]
	v_mul_f32_e32 v34, 0x37800000, v33
	v_cndmask_b32_e32 v33, v33, v34, vcc
	v_cmp_class_f32_e32 vcc, v32, v45
	v_cndmask_b32_e32 v32, v33, v32, vcc
	v_div_scale_f32 v33, s[4:5], v32, v32, 1.0
	v_rcp_f32_e32 v34, v33
	v_fma_f32 v35, -v33, v34, 1.0
	v_fmac_f32_e32 v34, v35, v34
	v_div_scale_f32 v35, vcc, 1.0, v32, 1.0
	v_mul_f32_e32 v36, v35, v34
	v_fma_f32 v37, -v33, v36, v35
	v_fmac_f32_e32 v36, v37, v34
	v_fma_f32 v33, -v33, v36, v35
	v_div_fmas_f32 v33, v33, v34, v36
	v_div_fixup_f32 v32, v33, v32, 1.0
	v_mul_f32_e32 v30, v30, v32
.LBB6_194:                              ;   in Loop: Header=BB6_188 Depth=4
	s_or_b64 exec, exec, s[78:79]
	v_mul_f32_e32 v31, v31, v32
	v_fma_f32 v1, v1, v30, -v31
                                        ; implicit-def: $vgpr31
.LBB6_195:                              ;   in Loop: Header=BB6_188 Depth=4
	s_andn2_saveexec_b64 s[4:5], s[76:77]
; %bb.196:                              ;   in Loop: Header=BB6_188 Depth=4
	v_xor_b32_e32 v1, 0x80000000, v31
	v_mov_b32_e32 v32, 1.0
	v_mov_b32_e32 v30, 0
; %bb.197:                              ;   in Loop: Header=BB6_188 Depth=4
	s_or_b64 exec, exec, s[4:5]
.LBB6_198:                              ;   in Loop: Header=BB6_188 Depth=4
	s_or_b64 exec, exec, s[74:75]
	s_cmp_eq_u32 s16, 0
	s_cbranch_scc1 .LBB6_187
; %bb.199:                              ;   in Loop: Header=BB6_188 Depth=4
	global_store_dword v[28:29], v1, off
	s_branch .LBB6_187
.LBB6_200:                              ;   in Loop: Header=BB6_161 Depth=3
	s_or_b64 exec, exec, s[64:65]
	ds_write_b32 v3, v2 offset:8
.LBB6_201:                              ;   in Loop: Header=BB6_161 Depth=3
	s_or_b64 exec, exec, s[62:63]
	global_load_dword v19, v[20:21], off
.LBB6_202:                              ;   in Loop: Header=BB6_161 Depth=3
	s_or_b64 exec, exec, s[8:9]
	s_waitcnt vmcnt(0)
	v_sub_f32_e32 v2, v19, v2
	global_store_dword v[20:21], v2, off
	global_store_dword v[26:27], v1, off
                                        ; implicit-def: $vgpr20_vgpr21
                                        ; implicit-def: $vgpr26_vgpr27
                                        ; implicit-def: $vgpr18
                                        ; implicit-def: $vgpr19
                                        ; implicit-def: $vgpr24
.LBB6_203:                              ;   in Loop: Header=BB6_161 Depth=3
	s_andn2_saveexec_b64 s[60:61], s[60:61]
	s_cbranch_execz .LBB6_236
; %bb.204:                              ;   in Loop: Header=BB6_161 Depth=3
	v_ashrrev_i32_e32 v25, 31, v24
	v_lshlrev_b64 v[22:23], 2, v[24:25]
	v_mov_b32_e32 v1, s45
	v_add_co_u32_e32 v24, vcc, s44, v22
	v_addc_co_u32_e32 v25, vcc, v1, v23, vcc
	v_mov_b32_e32 v1, s89
	v_add_co_u32_e32 v28, vcc, s7, v22
	v_addc_co_u32_e32 v29, vcc, v1, v23, vcc
	global_load_dword v24, v[24:25], off
	s_nop 0
	global_load_dword v29, v[28:29], off
                                        ; implicit-def: $vgpr2
	s_waitcnt vmcnt(1)
	v_sub_f32_e32 v28, v24, v19
	s_waitcnt vmcnt(0)
	v_add_f32_e32 v1, v29, v29
	v_and_b32_e32 v25, 0x7fffffff, v1
	v_cmp_ngt_f32_e64 s[4:5], |v28|, |v1|
	s_and_saveexec_b64 s[8:9], s[4:5]
	s_xor_b64 s[8:9], exec, s[8:9]
	s_cbranch_execz .LBB6_210
; %bb.205:                              ;   in Loop: Header=BB6_161 Depth=3
	v_cmp_nlt_f32_e64 s[4:5], |v28|, |v1|
                                        ; implicit-def: $vgpr2
	s_and_saveexec_b64 s[62:63], s[4:5]
	s_xor_b64 s[4:5], exec, s[62:63]
; %bb.206:                              ;   in Loop: Header=BB6_161 Depth=3
	s_mov_b32 s62, 0x667f3bcd
	v_cvt_f64_f32_e32 v[30:31], v25
	s_mov_b32 s63, 0x3ff6a09e
	v_mul_f64 v[30:31], v[30:31], s[62:63]
	v_cvt_f32_f64_e32 v2, v[30:31]
                                        ; implicit-def: $vgpr25
; %bb.207:                              ;   in Loop: Header=BB6_161 Depth=3
	s_andn2_saveexec_b64 s[62:63], s[4:5]
	s_cbranch_execz .LBB6_209
; %bb.208:                              ;   in Loop: Header=BB6_161 Depth=3
	v_and_b32_e32 v2, 0x7fffffff, v28
	v_div_scale_f32 v30, s[4:5], v25, v25, v2
	v_rcp_f32_e32 v31, v30
	v_div_scale_f32 v2, vcc, v2, v25, v2
	v_fma_f32 v25, -v30, v31, 1.0
	v_fmac_f32_e32 v31, v25, v31
	v_mul_f32_e32 v25, v2, v31
	v_fma_f32 v32, -v30, v25, v2
	v_fmac_f32_e32 v25, v32, v31
	v_fma_f32 v2, -v30, v25, v2
	v_div_fmas_f32 v2, v2, v31, v25
	v_div_fixup_f32 v2, v2, |v1|, |v28|
	v_fma_f32 v2, v2, v2, 1.0
	v_mul_f32_e32 v25, 0x4f800000, v2
	v_cmp_gt_f32_e32 vcc, s90, v2
	v_cndmask_b32_e32 v2, v2, v25, vcc
	v_sqrt_f32_e32 v25, v2
	v_add_u32_e32 v30, -1, v25
	v_fma_f32 v31, -v30, v25, v2
	v_cmp_ge_f32_e64 s[4:5], 0, v31
	v_add_u32_e32 v31, 1, v25
	v_cndmask_b32_e64 v30, v25, v30, s[4:5]
	v_fma_f32 v25, -v31, v25, v2
	v_cmp_lt_f32_e64 s[4:5], 0, v25
	v_cndmask_b32_e64 v25, v30, v31, s[4:5]
	v_mul_f32_e32 v30, 0x37800000, v25
	v_cndmask_b32_e32 v25, v25, v30, vcc
	v_cmp_class_f32_e32 vcc, v2, v45
	v_cndmask_b32_e32 v2, v25, v2, vcc
	v_mul_f32_e64 v2, |v1|, v2
.LBB6_209:                              ;   in Loop: Header=BB6_161 Depth=3
	s_or_b64 exec, exec, s[62:63]
                                        ; implicit-def: $vgpr25
.LBB6_210:                              ;   in Loop: Header=BB6_161 Depth=3
	s_andn2_saveexec_b64 s[8:9], s[8:9]
	s_cbranch_execz .LBB6_212
; %bb.211:                              ;   in Loop: Header=BB6_161 Depth=3
	v_and_b32_e32 v2, 0x7fffffff, v28
	v_div_scale_f32 v30, s[4:5], v2, v2, v25
	v_rcp_f32_e32 v31, v30
	v_div_scale_f32 v2, vcc, v25, v2, v25
	v_fma_f32 v25, -v30, v31, 1.0
	v_fmac_f32_e32 v31, v25, v31
	v_mul_f32_e32 v25, v2, v31
	v_fma_f32 v32, -v30, v25, v2
	v_fmac_f32_e32 v25, v32, v31
	v_fma_f32 v2, -v30, v25, v2
	v_div_fmas_f32 v2, v2, v31, v25
	v_div_fixup_f32 v2, v2, |v28|, |v1|
	v_fma_f32 v2, v2, v2, 1.0
	v_mul_f32_e32 v25, 0x4f800000, v2
	v_cmp_gt_f32_e32 vcc, s90, v2
	v_cndmask_b32_e32 v2, v2, v25, vcc
	v_sqrt_f32_e32 v25, v2
	v_add_u32_e32 v30, -1, v25
	v_fma_f32 v31, -v30, v25, v2
	v_cmp_ge_f32_e64 s[4:5], 0, v31
	v_add_u32_e32 v31, 1, v25
	v_cndmask_b32_e64 v30, v25, v30, s[4:5]
	v_fma_f32 v25, -v31, v25, v2
	v_cmp_lt_f32_e64 s[4:5], 0, v25
	v_cndmask_b32_e64 v25, v30, v31, s[4:5]
	v_mul_f32_e32 v30, 0x37800000, v25
	v_cndmask_b32_e32 v25, v25, v30, vcc
	v_cmp_class_f32_e32 vcc, v2, v45
	v_cndmask_b32_e32 v2, v25, v2, vcc
	v_mul_f32_e64 v2, |v28|, v2
.LBB6_212:                              ;   in Loop: Header=BB6_161 Depth=3
	s_or_b64 exec, exec, s[8:9]
	v_add_f32_e32 v31, v19, v24
	v_cmp_gt_f32_e64 vcc, |v24|, |v19|
	v_cndmask_b32_e32 v30, v24, v19, vcc
	v_cndmask_b32_e32 v32, v19, v24, vcc
	v_cmp_ngt_f32_e32 vcc, 0, v31
                                        ; implicit-def: $vgpr19
                                        ; implicit-def: $vgpr24_vgpr25
	s_and_saveexec_b64 s[4:5], vcc
	s_xor_b64 s[4:5], exec, s[4:5]
	s_cbranch_execz .LBB6_218
; %bb.213:                              ;   in Loop: Header=BB6_161 Depth=3
	v_cmp_nlt_f32_e32 vcc, 0, v31
                                        ; implicit-def: $sgpr16
                                        ; implicit-def: $vgpr24_vgpr25
	s_and_saveexec_b64 s[8:9], vcc
	s_xor_b64 s[8:9], exec, s[8:9]
; %bb.214:                              ;   in Loop: Header=BB6_161 Depth=3
	s_mov_b32 s62, 0.5
	s_mov_b32 s63, -0.5
	v_pk_mul_f32 v[24:25], v[2:3], s[62:63] op_sel_hi:[0,1]
	s_mov_b32 s16, 1
                                        ; implicit-def: $vgpr31
                                        ; implicit-def: $vgpr32
                                        ; implicit-def: $vgpr30
                                        ; implicit-def: $vgpr29
; %bb.215:                              ;   in Loop: Header=BB6_161 Depth=3
	s_or_saveexec_b64 s[8:9], s[8:9]
	v_mov_b32_e32 v19, s16
	s_xor_b64 exec, exec, s[8:9]
	s_cbranch_execz .LBB6_217
; %bb.216:                              ;   in Loop: Header=BB6_161 Depth=3
	v_add_f32_e32 v19, v31, v2
	v_mul_f32_e32 v24, 0.5, v19
	v_cvt_f64_f32_e32 v[32:33], v32
	v_cvt_f64_f32_e32 v[34:35], v24
	v_div_scale_f64 v[36:37], s[62:63], v[34:35], v[34:35], v[32:33]
	v_rcp_f64_e32 v[38:39], v[36:37]
	v_cvt_f64_f32_e32 v[30:31], v30
	v_mov_b32_e32 v19, 1
	v_fma_f64 v[50:51], -v[36:37], v[38:39], 1.0
	v_fmac_f64_e32 v[38:39], v[38:39], v[50:51]
	v_fma_f64 v[50:51], -v[36:37], v[38:39], 1.0
	v_fmac_f64_e32 v[38:39], v[38:39], v[50:51]
	v_div_scale_f64 v[50:51], vcc, v[32:33], v[34:35], v[32:33]
	v_mul_f64 v[52:53], v[50:51], v[38:39]
	v_fma_f64 v[36:37], -v[36:37], v[52:53], v[50:51]
	v_cvt_f64_f32_e32 v[50:51], v29
	v_div_scale_f64 v[54:55], s[62:63], v[34:35], v[34:35], v[50:51]
	v_rcp_f64_e32 v[56:57], v[54:55]
	v_div_fmas_f64 v[36:37], v[36:37], v[38:39], v[52:53]
	v_div_fixup_f64 v[32:33], v[36:37], v[34:35], v[32:33]
	v_fma_f64 v[36:37], -v[54:55], v[56:57], 1.0
	v_fmac_f64_e32 v[56:57], v[56:57], v[36:37]
	v_fma_f64 v[36:37], -v[54:55], v[56:57], 1.0
	v_fmac_f64_e32 v[56:57], v[56:57], v[36:37]
	v_div_scale_f64 v[36:37], vcc, v[50:51], v[34:35], v[50:51]
	v_mul_f64 v[38:39], v[36:37], v[56:57]
	v_fma_f64 v[36:37], -v[54:55], v[38:39], v[36:37]
	s_nop 1
	v_div_fmas_f64 v[36:37], v[36:37], v[56:57], v[38:39]
	v_div_fixup_f64 v[34:35], v[36:37], v[34:35], v[50:51]
	v_mul_f64 v[34:35], v[34:35], v[50:51]
	v_fma_f64 v[30:31], v[32:33], v[30:31], -v[34:35]
	v_cvt_f32_f64_e32 v25, v[30:31]
.LBB6_217:                              ;   in Loop: Header=BB6_161 Depth=3
	s_or_b64 exec, exec, s[8:9]
                                        ; implicit-def: $vgpr31
                                        ; implicit-def: $vgpr32
                                        ; implicit-def: $vgpr30
                                        ; implicit-def: $vgpr29
.LBB6_218:                              ;   in Loop: Header=BB6_161 Depth=3
	s_andn2_saveexec_b64 s[4:5], s[4:5]
	s_cbranch_execz .LBB6_220
; %bb.219:                              ;   in Loop: Header=BB6_161 Depth=3
	v_sub_f32_e32 v19, v31, v2
	v_mul_f32_e32 v24, 0.5, v19
	v_cvt_f64_f32_e32 v[32:33], v32
	v_cvt_f64_f32_e32 v[34:35], v24
	v_div_scale_f64 v[36:37], s[8:9], v[34:35], v[34:35], v[32:33]
	v_rcp_f64_e32 v[38:39], v[36:37]
	v_cvt_f64_f32_e32 v[30:31], v30
	v_mov_b32_e32 v19, -1
	v_fma_f64 v[50:51], -v[36:37], v[38:39], 1.0
	v_fmac_f64_e32 v[38:39], v[38:39], v[50:51]
	v_fma_f64 v[50:51], -v[36:37], v[38:39], 1.0
	v_fmac_f64_e32 v[38:39], v[38:39], v[50:51]
	v_div_scale_f64 v[50:51], vcc, v[32:33], v[34:35], v[32:33]
	v_mul_f64 v[52:53], v[50:51], v[38:39]
	v_fma_f64 v[36:37], -v[36:37], v[52:53], v[50:51]
	v_cvt_f64_f32_e32 v[50:51], v29
	v_div_scale_f64 v[54:55], s[8:9], v[34:35], v[34:35], v[50:51]
	v_rcp_f64_e32 v[56:57], v[54:55]
	v_div_fmas_f64 v[36:37], v[36:37], v[38:39], v[52:53]
	v_div_fixup_f64 v[32:33], v[36:37], v[34:35], v[32:33]
	v_fma_f64 v[36:37], -v[54:55], v[56:57], 1.0
	v_fmac_f64_e32 v[56:57], v[56:57], v[36:37]
	v_fma_f64 v[36:37], -v[54:55], v[56:57], 1.0
	v_fmac_f64_e32 v[56:57], v[56:57], v[36:37]
	v_div_scale_f64 v[36:37], vcc, v[50:51], v[34:35], v[50:51]
	v_mul_f64 v[38:39], v[36:37], v[56:57]
	v_fma_f64 v[36:37], -v[54:55], v[38:39], v[36:37]
	s_nop 1
	v_div_fmas_f64 v[36:37], v[36:37], v[56:57], v[38:39]
	v_div_fixup_f64 v[34:35], v[36:37], v[34:35], v[50:51]
	v_mul_f64 v[34:35], v[34:35], v[50:51]
	v_fma_f64 v[30:31], v[32:33], v[30:31], -v[34:35]
	v_cvt_f32_f64_e32 v25, v[30:31]
.LBB6_220:                              ;   in Loop: Header=BB6_161 Depth=3
	s_or_b64 exec, exec, s[4:5]
	v_cmp_nle_f32_e64 s[4:5], 0, v28
	v_cndmask_b32_e64 v2, v2, -v2, s[4:5]
	v_add_f32_e32 v2, v28, v2
	v_cmp_ngt_f32_e64 s[8:9], |v2|, |v1|
                                        ; implicit-def: $vgpr28
                                        ; implicit-def: $vgpr29
	s_and_saveexec_b64 s[62:63], s[8:9]
	s_xor_b64 s[62:63], exec, s[62:63]
	s_cbranch_execz .LBB6_224
; %bb.221:                              ;   in Loop: Header=BB6_161 Depth=3
	v_cmp_neq_f32_e32 vcc, 0, v1
	v_mov_b32_e32 v28, 0
	v_mov_b32_e32 v29, 1.0
	s_and_saveexec_b64 s[64:65], vcc
	s_cbranch_execz .LBB6_223
; %bb.222:                              ;   in Loop: Header=BB6_161 Depth=3
	v_div_scale_f32 v28, s[8:9], v1, v1, -v2
	v_rcp_f32_e32 v29, v28
	v_div_scale_f32 v30, vcc, -v2, v1, -v2
	v_fma_f32 v31, -v28, v29, 1.0
	v_fmac_f32_e32 v29, v31, v29
	v_mul_f32_e32 v31, v30, v29
	v_fma_f32 v32, -v28, v31, v30
	v_fmac_f32_e32 v31, v32, v29
	v_fma_f32 v28, -v28, v31, v30
	v_div_fmas_f32 v28, v28, v29, v31
	v_div_fixup_f32 v1, v28, v1, -v2
	v_fma_f32 v2, v1, v1, 1.0
	v_mul_f32_e32 v28, 0x4f800000, v2
	v_cmp_gt_f32_e32 vcc, s90, v2
	v_cndmask_b32_e32 v2, v2, v28, vcc
	v_sqrt_f32_e32 v28, v2
	v_add_u32_e32 v29, -1, v28
	v_fma_f32 v31, -v29, v28, v2
	v_add_u32_e32 v30, 1, v28
	v_cmp_ge_f32_e64 s[8:9], 0, v31
	v_cndmask_b32_e64 v29, v28, v29, s[8:9]
	v_fma_f32 v28, -v30, v28, v2
	v_cmp_lt_f32_e64 s[8:9], 0, v28
	v_cndmask_b32_e64 v28, v29, v30, s[8:9]
	v_mul_f32_e32 v29, 0x37800000, v28
	v_cndmask_b32_e32 v28, v28, v29, vcc
	v_cmp_class_f32_e32 vcc, v2, v45
	v_cndmask_b32_e32 v2, v28, v2, vcc
	v_div_scale_f32 v28, s[8:9], v2, v2, 1.0
	v_rcp_f32_e32 v29, v28
	v_fma_f32 v30, -v28, v29, 1.0
	v_fmac_f32_e32 v29, v30, v29
	v_div_scale_f32 v30, vcc, 1.0, v2, 1.0
	v_mul_f32_e32 v31, v30, v29
	v_fma_f32 v32, -v28, v31, v30
	v_fmac_f32_e32 v31, v32, v29
	v_fma_f32 v28, -v28, v31, v30
	v_div_fmas_f32 v28, v28, v29, v31
	v_div_fixup_f32 v29, v28, v2, 1.0
	v_mul_f32_e32 v28, v1, v29
.LBB6_223:                              ;   in Loop: Header=BB6_161 Depth=3
	s_or_b64 exec, exec, s[64:65]
                                        ; implicit-def: $vgpr2
                                        ; implicit-def: $vgpr1
.LBB6_224:                              ;   in Loop: Header=BB6_161 Depth=3
	s_andn2_saveexec_b64 s[62:63], s[62:63]
	s_cbranch_execz .LBB6_226
; %bb.225:                              ;   in Loop: Header=BB6_161 Depth=3
	v_div_scale_f32 v28, s[8:9], v2, v2, -v1
	v_rcp_f32_e32 v29, v28
	v_div_scale_f32 v30, vcc, -v1, v2, -v1
	v_fma_f32 v31, -v28, v29, 1.0
	v_fmac_f32_e32 v29, v31, v29
	v_mul_f32_e32 v31, v30, v29
	v_fma_f32 v32, -v28, v31, v30
	v_fmac_f32_e32 v31, v32, v29
	v_fma_f32 v28, -v28, v31, v30
	v_div_fmas_f32 v28, v28, v29, v31
	v_div_fixup_f32 v1, v28, v2, -v1
	v_fma_f32 v2, v1, v1, 1.0
	v_mul_f32_e32 v28, 0x4f800000, v2
	v_cmp_gt_f32_e32 vcc, s90, v2
	v_cndmask_b32_e32 v2, v2, v28, vcc
	v_sqrt_f32_e32 v28, v2
	v_add_u32_e32 v29, -1, v28
	v_fma_f32 v30, -v29, v28, v2
	v_cmp_ge_f32_e64 s[8:9], 0, v30
	v_add_u32_e32 v30, 1, v28
	v_cndmask_b32_e64 v29, v28, v29, s[8:9]
	v_fma_f32 v28, -v30, v28, v2
	v_cmp_lt_f32_e64 s[8:9], 0, v28
	v_cndmask_b32_e64 v28, v29, v30, s[8:9]
	v_mul_f32_e32 v29, 0x37800000, v28
	v_cndmask_b32_e32 v28, v28, v29, vcc
	v_cmp_class_f32_e32 vcc, v2, v45
	v_cndmask_b32_e32 v2, v28, v2, vcc
	v_div_scale_f32 v28, s[8:9], v2, v2, 1.0
	v_rcp_f32_e32 v29, v28
	v_fma_f32 v30, -v28, v29, 1.0
	v_fmac_f32_e32 v29, v30, v29
	v_div_scale_f32 v30, vcc, 1.0, v2, 1.0
	v_mul_f32_e32 v31, v30, v29
	v_fma_f32 v32, -v28, v31, v30
	v_fmac_f32_e32 v31, v32, v29
	v_fma_f32 v28, -v28, v31, v30
	v_div_fmas_f32 v28, v28, v29, v31
	v_div_fixup_f32 v28, v28, v2, 1.0
	v_mul_f32_e32 v29, v1, v28
.LBB6_226:                              ;   in Loop: Header=BB6_161 Depth=3
	s_or_b64 exec, exec, s[62:63]
	v_cndmask_b32_e64 v1, 1, -1, s[4:5]
	v_cmp_eq_u32_e32 vcc, v19, v1
	v_cndmask_b32_e64 v1, v29, -v28, vcc
	v_cndmask_b32_e32 v2, v28, v29, vcc
	v_mov_b32_e32 v19, s47
	v_add_co_u32_e32 v22, vcc, s46, v22
	v_addc_co_u32_e32 v23, vcc, v19, v23, vcc
	global_store_dword v[22:23], v1, off
	v_mov_b32_e32 v1, s51
	v_add_co_u32_e32 v22, vcc, s50, v22
	v_addc_co_u32_e32 v23, vcc, v23, v1, vcc
	global_store_dword v[22:23], v2, off offset:-4
	global_store_dwordx2 v[20:21], v[24:25], off offset:-4
	v_mov_b32_e32 v1, s21
	v_add_co_u32_e32 v20, vcc, s20, v26
	v_addc_co_u32_e32 v21, vcc, v1, v27, vcc
	v_add_u32_e32 v1, -2, v18
	global_store_dword v[20:21], v3, off
	ds_write_b32 v3, v1
	s_or_b64 exec, exec, s[60:61]
                                        ; implicit-def: $vgpr1
.LBB6_227:                              ;   in Loop: Header=BB6_161 Depth=3
	s_andn2_saveexec_b64 s[4:5], s[58:59]
	s_cbranch_execz .LBB6_229
.LBB6_228:                              ;   in Loop: Header=BB6_161 Depth=3
	ds_write_b32 v3, v1
.LBB6_229:                              ;   in Loop: Header=BB6_161 Depth=3
	s_or_b64 exec, exec, s[4:5]
.LBB6_230:                              ;   in Loop: Header=BB6_161 Depth=3
	s_or_b64 exec, exec, s[10:11]
	s_waitcnt lgkmcnt(0)
	s_barrier
	ds_read_b64 v[18:19], v3
	s_waitcnt lgkmcnt(0)
	v_readfirstlane_b32 s8, v19
	v_cmp_eq_u32_e32 vcc, s8, v18
	v_mov_b32_e32 v18, s8
	s_cbranch_vccnz .LBB6_160
; %bb.231:                              ;   in Loop: Header=BB6_161 Depth=3
	s_and_saveexec_b64 s[4:5], s[2:3]
	s_cbranch_execz .LBB6_159
; %bb.232:                              ;   in Loop: Header=BB6_161 Depth=3
	ds_read_b32 v1, v3 offset:16
	s_ashr_i32 s9, s8, 31
	s_lshl_b64 s[58:59], s[8:9], 2
	s_mul_i32 s10, s8, s23
	v_mov_b32_e32 v2, v0
	s_waitcnt lgkmcnt(0)
	v_readfirstlane_b32 s9, v1
	s_sub_i32 s16, s9, s8
	s_add_u32 s8, s46, s58
	s_addc_u32 s9, s47, s59
	s_ashr_i32 s11, s10, 31
	s_lshl_b64 s[58:59], s[10:11], 2
	s_add_u32 s37, s87, s58
	s_addc_u32 s62, s88, s59
	s_cmp_gt_i32 s16, 0
	s_mul_hi_i32 s61, s16, s26
	s_mul_i32 s60, s16, s26
	s_cselect_b64 s[10:11], -1, 0
	s_lshl_b64 s[60:61], s[60:61], 2
	s_add_u32 s63, s37, s60
	v_mov_b32_e32 v1, s59
	v_add_co_u32_e32 v18, vcc, s58, v47
	s_addc_u32 s64, s62, s61
	v_addc_co_u32_e32 v19, vcc, v48, v1, vcc
	s_mov_b64 s[58:59], 0
	s_branch .LBB6_234
.LBB6_233:                              ;   in Loop: Header=BB6_234 Depth=4
	v_mov_b32_e32 v22, s64
	v_add_co_u32_e32 v20, vcc, s63, v20
	v_addc_co_u32_e32 v21, vcc, v22, v21, vcc
	v_add_u32_e32 v2, s15, v2
	v_cmp_le_i32_e32 vcc, s40, v2
	s_waitcnt vmcnt(0) lgkmcnt(0)
	flat_store_dword v[20:21], v1
	v_mov_b32_e32 v1, s93
	s_or_b64 s[58:59], vcc, s[58:59]
	v_add_co_u32_e32 v18, vcc, s92, v18
	v_addc_co_u32_e32 v19, vcc, v19, v1, vcc
	s_andn2_b64 exec, exec, s[58:59]
	s_cbranch_execz .LBB6_159
.LBB6_234:                              ;   Parent Loop BB6_7 Depth=1
                                        ;     Parent Loop BB6_40 Depth=2
                                        ;       Parent Loop BB6_161 Depth=3
                                        ; =>      This Loop Header: Depth=4
                                        ;           Child Loop BB6_235 Depth 5
	v_lshlrev_b64 v[20:21], 2, v[2:3]
	v_mov_b32_e32 v1, s62
	v_add_co_u32_e32 v22, vcc, s37, v20
	v_addc_co_u32_e32 v23, vcc, v1, v21, vcc
	flat_load_dword v1, v[22:23]
	s_andn2_b64 vcc, exec, s[10:11]
	s_mov_b64 s[60:61], s[8:9]
	v_pk_mov_b32 v[22:23], v[18:19], v[18:19] op_sel:[0,1]
	s_mov_b32 s65, s16
	s_cbranch_vccnz .LBB6_233
.LBB6_235:                              ;   Parent Loop BB6_7 Depth=1
                                        ;     Parent Loop BB6_40 Depth=2
                                        ;       Parent Loop BB6_161 Depth=3
                                        ;         Parent Loop BB6_234 Depth=4
                                        ; =>        This Inner Loop Header: Depth=5
	v_mov_b32_e32 v25, s29
	v_add_co_u32_e32 v24, vcc, s28, v22
	s_add_u32 s66, s60, s41
	v_addc_co_u32_e32 v25, vcc, v23, v25, vcc
	s_addc_u32 s67, s61, s22
	flat_load_dword v26, v[24:25]
	global_load_dword v27, v3, s[66:67]
	global_load_dword v28, v3, s[60:61]
	s_add_i32 s65, s65, -1
	s_add_u32 s60, s60, 4
	s_addc_u32 s61, s61, 0
	s_cmp_eq_u32 s65, 0
	s_waitcnt vmcnt(0) lgkmcnt(0)
	v_mul_f32_e32 v29, v27, v26
	v_mul_f32_e32 v27, v1, v27
	v_fmac_f32_e32 v29, v1, v28
	v_fma_f32 v1, v28, v26, -v27
	flat_store_dword v[22:23], v29
	v_pk_mov_b32 v[22:23], v[24:25], v[24:25] op_sel:[0,1]
	s_cbranch_scc0 .LBB6_235
	s_branch .LBB6_233
.LBB6_236:                              ;   in Loop: Header=BB6_161 Depth=3
	s_or_b64 exec, exec, s[60:61]
                                        ; implicit-def: $vgpr1
	s_andn2_saveexec_b64 s[4:5], s[58:59]
	s_cbranch_execnz .LBB6_228
	s_branch .LBB6_229
.LBB6_237:                              ;   in Loop: Header=BB6_7 Depth=1
	v_pk_mov_b32 v[24:25], v[16:17], v[16:17] op_sel:[0,1]
	v_pk_mov_b32 v[20:21], v[14:15], v[14:15] op_sel:[0,1]
	v_mov_b32_e32 v19, v49
	v_cmp_gt_i32_e32 vcc, s36, v0
	s_and_saveexec_b64 s[2:3], vcc
	s_cbranch_execz .LBB6_5
	s_branch .LBB6_239
.LBB6_238:                              ;   in Loop: Header=BB6_7 Depth=1
	v_readlane_b32 s22, v66, 18
	v_cmp_gt_i32_e32 vcc, s36, v0
	s_and_saveexec_b64 s[2:3], vcc
	s_cbranch_execz .LBB6_5
.LBB6_239:                              ;   in Loop: Header=BB6_7 Depth=1
	s_lshl_b64 s[4:5], s[38:39], 2
	v_mov_b32_e32 v1, s5
	v_add_co_u32_e32 v14, vcc, s4, v43
	v_addc_co_u32_e32 v15, vcc, v44, v1, vcc
	s_mov_b64 s[4:5], 0
	v_mov_b32_e32 v1, v0
	s_branch .LBB6_241
.LBB6_240:                              ;   in Loop: Header=BB6_241 Depth=2
	s_or_b64 exec, exec, s[8:9]
	v_add_u32_e32 v1, s15, v1
	v_cmp_le_i32_e32 vcc, s36, v1
	v_mov_b32_e32 v2, s93
	s_or_b64 s[4:5], vcc, s[4:5]
	v_add_co_u32_e32 v14, vcc, s92, v14
	v_addc_co_u32_e32 v15, vcc, v15, v2, vcc
	s_andn2_b64 exec, exec, s[4:5]
	s_cbranch_execz .LBB6_5
.LBB6_241:                              ;   Parent Loop BB6_7 Depth=1
                                        ; =>  This Inner Loop Header: Depth=2
	global_load_dword v2, v[14:15], off
	s_waitcnt vmcnt(0)
	v_cmp_neq_f32_e32 vcc, 0, v2
	s_and_saveexec_b64 s[8:9], vcc
	s_cbranch_execz .LBB6_240
; %bb.242:                              ;   in Loop: Header=BB6_241 Depth=2
	s_mov_b64 s[10:11], exec
	v_mbcnt_lo_u32_b32 v2, s10, 0
	v_mbcnt_hi_u32_b32 v2, s11, v2
	v_cmp_eq_u32_e32 vcc, 0, v2
	s_and_b64 s[20:21], exec, vcc
	s_mov_b64 exec, s[20:21]
	s_cbranch_execz .LBB6_240
; %bb.243:                              ;   in Loop: Header=BB6_241 Depth=2
	s_bcnt1_i32_b64 s7, s[10:11]
	v_mov_b32_e32 v2, s7
	global_atomic_add v3, v2, s[18:19]
	s_branch .LBB6_240
.LBB6_244:
	s_endpgm
.LBB6_245:
                                        ; implicit-def: $sgpr2_sgpr3
                                        ; kill: killed $sgpr2_sgpr3
	s_branch .LBB6_2
	.section	.rodata,"a",@progbits
	.p2align	6, 0x0
	.amdhsa_kernel _ZN9rocsolver6v33100L19stedcx_solve_kernelIfEEviPT_lS3_lS3_iilPiS3_S4_S2_S2_S2_
		.amdhsa_group_segment_fixed_size 36
		.amdhsa_private_segment_fixed_size 0
		.amdhsa_kernarg_size 360
		.amdhsa_user_sgpr_count 6
		.amdhsa_user_sgpr_private_segment_buffer 1
		.amdhsa_user_sgpr_dispatch_ptr 0
		.amdhsa_user_sgpr_queue_ptr 0
		.amdhsa_user_sgpr_kernarg_segment_ptr 1
		.amdhsa_user_sgpr_dispatch_id 0
		.amdhsa_user_sgpr_flat_scratch_init 0
		.amdhsa_user_sgpr_kernarg_preload_length 0
		.amdhsa_user_sgpr_kernarg_preload_offset 0
		.amdhsa_user_sgpr_private_segment_size 0
		.amdhsa_uses_dynamic_stack 0
		.amdhsa_system_sgpr_private_segment_wavefront_offset 0
		.amdhsa_system_sgpr_workgroup_id_x 1
		.amdhsa_system_sgpr_workgroup_id_y 1
		.amdhsa_system_sgpr_workgroup_id_z 1
		.amdhsa_system_sgpr_workgroup_info 0
		.amdhsa_system_vgpr_workitem_id 0
		.amdhsa_next_free_vgpr 67
		.amdhsa_next_free_sgpr 96
		.amdhsa_accum_offset 68
		.amdhsa_reserve_vcc 1
		.amdhsa_reserve_flat_scratch 0
		.amdhsa_float_round_mode_32 0
		.amdhsa_float_round_mode_16_64 0
		.amdhsa_float_denorm_mode_32 3
		.amdhsa_float_denorm_mode_16_64 3
		.amdhsa_dx10_clamp 1
		.amdhsa_ieee_mode 1
		.amdhsa_fp16_overflow 0
		.amdhsa_tg_split 0
		.amdhsa_exception_fp_ieee_invalid_op 0
		.amdhsa_exception_fp_denorm_src 0
		.amdhsa_exception_fp_ieee_div_zero 0
		.amdhsa_exception_fp_ieee_overflow 0
		.amdhsa_exception_fp_ieee_underflow 0
		.amdhsa_exception_fp_ieee_inexact 0
		.amdhsa_exception_int_div_zero 0
	.end_amdhsa_kernel
	.section	.text._ZN9rocsolver6v33100L19stedcx_solve_kernelIfEEviPT_lS3_lS3_iilPiS3_S4_S2_S2_S2_,"axG",@progbits,_ZN9rocsolver6v33100L19stedcx_solve_kernelIfEEviPT_lS3_lS3_iilPiS3_S4_S2_S2_S2_,comdat
.Lfunc_end6:
	.size	_ZN9rocsolver6v33100L19stedcx_solve_kernelIfEEviPT_lS3_lS3_iilPiS3_S4_S2_S2_S2_, .Lfunc_end6-_ZN9rocsolver6v33100L19stedcx_solve_kernelIfEEviPT_lS3_lS3_iilPiS3_S4_S2_S2_S2_
                                        ; -- End function
	.section	.AMDGPU.csdata,"",@progbits
; Kernel info:
; codeLenInByte = 13436
; NumSgprs: 100
; NumVgprs: 67
; NumAgprs: 0
; TotalNumVgprs: 67
; ScratchSize: 0
; MemoryBound: 0
; FloatMode: 240
; IeeeMode: 1
; LDSByteSize: 36 bytes/workgroup (compile time only)
; SGPRBlocks: 12
; VGPRBlocks: 8
; NumSGPRsForWavesPerEU: 100
; NumVGPRsForWavesPerEU: 67
; AccumOffset: 68
; Occupancy: 7
; WaveLimiterHint : 1
; COMPUTE_PGM_RSRC2:SCRATCH_EN: 0
; COMPUTE_PGM_RSRC2:USER_SGPR: 6
; COMPUTE_PGM_RSRC2:TRAP_HANDLER: 0
; COMPUTE_PGM_RSRC2:TGID_X_EN: 1
; COMPUTE_PGM_RSRC2:TGID_Y_EN: 1
; COMPUTE_PGM_RSRC2:TGID_Z_EN: 1
; COMPUTE_PGM_RSRC2:TIDIG_COMP_CNT: 0
; COMPUTE_PGM_RSRC3_GFX90A:ACCUM_OFFSET: 16
; COMPUTE_PGM_RSRC3_GFX90A:TG_SPLIT: 0
	.section	.text._ZN9rocsolver6v33100L26stedcx_mergePrepare_kernelIfEEviiPT_lS3_lS3_iilS3_S3_PiS2_,"axG",@progbits,_ZN9rocsolver6v33100L26stedcx_mergePrepare_kernelIfEEviiPT_lS3_lS3_iilS3_S3_PiS2_,comdat
	.globl	_ZN9rocsolver6v33100L26stedcx_mergePrepare_kernelIfEEviiPT_lS3_lS3_iilS3_S3_PiS2_ ; -- Begin function _ZN9rocsolver6v33100L26stedcx_mergePrepare_kernelIfEEviiPT_lS3_lS3_iilS3_S3_PiS2_
	.p2align	8
	.type	_ZN9rocsolver6v33100L26stedcx_mergePrepare_kernelIfEEviiPT_lS3_lS3_iilS3_S3_PiS2_,@function
_ZN9rocsolver6v33100L26stedcx_mergePrepare_kernelIfEEviiPT_lS3_lS3_iilS3_S3_PiS2_: ; @_ZN9rocsolver6v33100L26stedcx_mergePrepare_kernelIfEEviiPT_lS3_lS3_iilS3_S3_PiS2_
; %bb.0:
	s_load_dwordx4 s[20:23], s[4:5], 0x28
	s_load_dwordx8 s[12:19], s[4:5], 0x38
	s_mov_b32 s24, s7
	s_mov_b64 s[2:3], 0
	s_waitcnt lgkmcnt(0)
	s_cmp_lg_u64 s[20:21], 0
	s_cbranch_scc0 .LBB7_92
; %bb.1:
	s_ashr_i32 s1, s8, 31
	s_mul_i32 s0, s8, s13
	s_mul_hi_u32 s7, s8, s12
	s_add_i32 s0, s7, s0
	s_mul_i32 s7, s1, s12
	s_add_i32 s13, s0, s7
	s_mul_i32 s12, s8, s12
	s_ashr_i32 s11, s22, 31
	s_lshl_b64 s[12:13], s[12:13], 2
	s_mov_b32 s10, s22
	s_add_u32 s0, s20, s12
	s_addc_u32 s7, s21, s13
	s_lshl_b64 s[10:11], s[10:11], 2
	s_add_u32 s12, s0, s10
	s_addc_u32 s13, s7, s11
	s_andn2_b64 vcc, exec, s[2:3]
	s_cbranch_vccnz .LBB7_3
.LBB7_2:
	s_ashr_i32 s1, s8, 31
                                        ; implicit-def: $sgpr12_sgpr13
.LBB7_3:
	s_load_dwordx2 s[20:21], s[4:5], 0x0
	s_waitcnt lgkmcnt(0)
	s_mul_i32 s0, s21, 5
	s_add_i32 s0, s0, 2
	s_mul_i32 s2, s0, s8
	s_ashr_i32 s3, s2, 31
	s_lshl_b64 s[10:11], s[2:3], 2
	s_add_u32 s7, s18, s10
	s_addc_u32 s22, s19, s11
	s_ashr_i32 s3, s21, 31
	s_mov_b32 s2, s21
	s_lshl_b64 s[42:43], s[2:3], 2
	s_add_u32 s26, s7, s42
	s_addc_u32 s27, s22, s43
	s_load_dword s33, s[26:27], 0x4
	s_waitcnt lgkmcnt(0)
	s_cmp_ge_i32 s24, s33
	s_cbranch_scc1 .LBB7_91
; %bb.4:
	s_load_dwordx8 s[44:51], s[4:5], 0x8
	v_lshlrev_b32_e32 v1, 2, v0
	v_add_u32_e32 v14, 0, v1
	v_mov_b32_e32 v22, 0
	s_mov_b32 s84, 0xf800000
	s_waitcnt lgkmcnt(0)
	s_mul_i32 s0, s8, s47
	s_mul_hi_u32 s3, s8, s46
	s_mul_i32 s9, s1, s46
	s_add_i32 s0, s3, s0
	s_mul_i32 s2, s8, s46
	s_add_i32 s3, s0, s9
	s_lshl_b64 s[2:3], s[2:3], 2
	s_mul_i32 s25, s8, s51
	s_add_u32 s58, s44, s2
	s_mul_hi_u32 s0, s8, s50
	s_addc_u32 s59, s45, s3
	s_add_i32 s0, s0, s25
	s_mul_i32 s1, s1, s50
	s_add_i32 s1, s0, s1
	s_mul_i32 s0, s8, s50
	s_lshl_b64 s[0:1], s[0:1], 2
	s_add_u32 s25, s48, s0
	s_addc_u32 s40, s49, s1
	s_add_u32 s60, s26, s42
	s_addc_u32 s61, s27, s43
	;; [unrolled: 2-line block ×3, first 2 shown]
	s_lshl_b32 s2, s8, 1
	s_mul_i32 s0, s2, s21
	s_ashr_i32 s1, s0, 31
	s_lshl_b64 s[0:1], s[0:1], 2
	s_add_u32 s62, s14, s0
	s_mul_i32 s14, s21, s21
	s_mul_i32 s0, s2, s14
	s_addc_u32 s63, s15, s1
	s_ashr_i32 s1, s0, 31
	s_load_dword s8, s[4:5], 0x6c
	s_lshl_b64 s[0:1], s[0:1], 2
	s_add_u32 s2, s16, s0
	s_mov_b32 s15, 0
	s_addc_u32 s3, s17, s1
	s_lshl_b64 s[0:1], s[14:15], 2
	s_add_u32 s14, s2, s0
	s_load_dword s0, s[4:5], 0x58
	s_addc_u32 s64, s3, s1
	s_waitcnt lgkmcnt(0)
	s_and_b32 s65, s8, 0xffff
	s_lshl_b32 s1, s65, 2
	s_add_i32 s66, s1, 0
	s_add_u32 s67, s12, -4
	s_addc_u32 s68, s13, -1
	s_bfe_u32 s72, s8, 0xf0001
	v_add_u32_e32 v15, s66, v1
	v_mov_b32_e32 v1, 0x41000000
	v_mul_f32_e32 v16, s0, v1
	v_cvt_f32_u32_e32 v1, s72
	s_not_b32 s69, s20
	s_lshl_b32 s70, 1, s20
	s_lshl_b32 s71, 2, s20
	s_mul_i32 s8, s71, s6
	s_cmp_gt_i32 s70, 1
	s_cselect_b64 s[16:17], -1, 0
	s_ashr_i32 s9, s8, 31
	v_rcp_iflag_f32_e32 v1, v1
	s_cmp_gt_i32 s71, 1
	s_cselect_b64 s[28:29], -1, 0
	s_cmp_gt_i32 s21, 0
	s_cselect_b64 s[30:31], -1, 0
	s_cmp_eq_u32 s20, 1
	s_bfm_b32 s2, s20, 0
	s_cselect_b64 s[34:35], -1, 0
	s_cmp_lg_u32 s20, 1
	v_mul_f32_e32 v1, 0x4f7ffffe, v1
	s_cselect_b64 s[36:37], -1, 0
	s_and_b32 s73, s2, -2
	s_or_b32 s74, s2, 1
	v_cvt_u32_f32_e32 v1, v1
	s_cmp_lg_u32 s2, s73
	v_cmp_gt_u32_e64 s[2:3], s72, v0
	s_cselect_b64 s[38:39], -1, 0
	v_cndmask_b32_e64 v3, -4, 0, s[2:3]
	s_cmp_lg_u32 s20, 0
	v_cndmask_b32_e64 v2, -1, 0, s[2:3]
	v_mov_b32_e32 v4, s40
	v_add_co_u32_e32 v17, vcc, s25, v3
	s_cselect_b64 s[40:41], -1, 0
	s_sub_i32 s4, 0, s72
	v_addc_co_u32_e32 v18, vcc, v4, v2, vcc
	v_mul_lo_u32 v2, s4, v1
	v_mul_hi_u32 v2, v1, v2
	v_add_u32_e32 v1, v1, v2
	v_mul_hi_u32 v1, v0, v1
	v_mul_lo_u32 v2, v1, s72
	v_sub_u32_e32 v2, v0, v2
	v_add_u32_e32 v3, 1, v1
	v_cmp_le_u32_e32 vcc, s72, v2
	v_cndmask_b32_e32 v1, v1, v3, vcc
	v_subrev_u32_e32 v3, s72, v2
	v_cndmask_b32_e32 v2, v2, v3, vcc
	v_add_u32_e32 v3, 1, v1
	v_cmp_le_u32_e32 vcc, s72, v2
	s_add_i32 s75, s71, -1
	v_cndmask_b32_e32 v1, v1, v3, vcc
	v_mul_lo_u32 v2, v1, s72
	v_lshlrev_b32_e32 v1, s20, v1
	s_add_u32 s20, s44, 8
	s_addc_u32 s76, s45, 0
	s_add_u32 s77, s20, s42
	s_addc_u32 s78, s76, s43
	v_sub_u32_e32 v19, v0, v2
	v_add_u32_e32 v2, s8, v1
	s_add_u32 s10, s42, s10
	v_ashrrev_i32_e32 v3, 31, v2
	v_add_u32_e32 v1, 1, v2
	s_addc_u32 s11, s43, s11
	v_add3_u32 v4, s70, -2, v1
	v_lshlrev_b64 v[2:3], 2, v[2:3]
	s_add_u32 s25, s18, s10
	v_cmp_ge_i32_e64 s[4:5], v4, v1
	s_addc_u32 s42, s19, s11
	v_add_co_u32_e32 v4, vcc, s25, v2
	s_lshl_b32 s25, s65, 1
	v_mov_b32_e32 v1, s42
	s_and_b32 s79, s25, 0x1fffc
	s_add_i32 s81, s71, -2
	s_lshl_b64 s[42:43], s[8:9], 2
	s_add_u32 s8, s10, s42
	s_addc_u32 s9, s11, s43
	s_add_u32 s8, s8, s18
	v_addc_co_u32_e32 v1, vcc, v1, v3, vcc
	s_addc_u32 s9, s9, s19
	v_add_co_u32_e32 v20, vcc, 8, v4
	s_add_u32 s82, s8, 8
	s_mov_b32 s18, 0x667f3bcd
	v_cmp_eq_u32_e64 s[0:1], 0, v0
	v_addc_co_u32_e32 v21, vcc, 0, v1, vcc
	s_mul_i32 s80, s23, s72
	s_addc_u32 s83, s9, 0
	s_mov_b32 s19, 0x3ff6a09e
	v_mov_b32_e32 v23, 0x260
	s_branch .LBB7_6
.LBB7_5:                                ;   in Loop: Header=BB7_6 Depth=1
	s_add_i32 s24, s24, 8
	s_cmp_ge_i32 s24, s33
	s_cbranch_scc1 .LBB7_91
.LBB7_6:                                ; =>This Loop Header: Depth=1
                                        ;     Child Loop BB7_16 Depth 2
                                        ;     Child Loop BB7_21 Depth 2
	;; [unrolled: 1-line block ×9, first 2 shown]
                                        ;       Child Loop BB7_51 Depth 3
                                        ;         Child Loop BB7_82 Depth 4
                                        ;     Child Loop BB7_87 Depth 2
	s_ashr_i32 s25, s24, 31
	s_lshl_b64 s[8:9], s[24:25], 2
	s_add_u32 s8, s7, s8
	s_addc_u32 s9, s22, s9
	s_barrier
	global_load_dwordx2 v[4:5], v22, s[8:9]
	s_mov_b32 s10, 0
	s_waitcnt vmcnt(0)
	v_readfirstlane_b32 s8, v4
	v_readfirstlane_b32 s9, v5
	s_sub_i32 s9, s9, s8
	s_cmp_lt_i32 s9, 3
	s_cbranch_scc1 .LBB7_11
; %bb.7:                                ;   in Loop: Header=BB7_6 Depth=1
	s_cmp_lt_u32 s9, 5
	s_mov_b32 s10, 1
	s_cbranch_scc1 .LBB7_11
; %bb.8:                                ;   in Loop: Header=BB7_6 Depth=1
	s_cmp_lt_u32 s9, 33
	s_mov_b32 s10, 2
	s_cbranch_scc1 .LBB7_11
; %bb.9:                                ;   in Loop: Header=BB7_6 Depth=1
	s_cmpk_lt_u32 s9, 0xe9
	s_mov_b32 s10, 4
	s_cbranch_scc1 .LBB7_11
; %bb.10:                               ;   in Loop: Header=BB7_6 Depth=1
	s_cmpk_lt_u32 s9, 0x128
	s_cselect_b32 s10, 5, 7
	s_cmpk_lt_u32 s9, 0x79b
	s_cselect_b32 s10, s10, 8
.LBB7_11:                               ;   in Loop: Header=BB7_6 Depth=1
	s_add_i32 s9, s10, s69
	s_lshl_b32 s10, 1, s9
	s_cmp_gt_i32 s9, -1
	s_cselect_b32 s9, s10, 0
	s_cmp_ge_i32 s6, s9
	s_cbranch_scc1 .LBB7_5
; %bb.12:                               ;   in Loop: Header=BB7_6 Depth=1
	s_ashr_i32 s9, s8, 31
	s_lshl_b64 s[10:11], s[8:9], 2
	s_add_u32 s25, s26, s10
	s_addc_u32 s50, s27, s11
	s_add_u32 s48, s60, s10
	s_addc_u32 s49, s61, s11
	v_mov_b32_e32 v1, s49
	v_add_co_u32_e32 v4, vcc, s48, v2
	v_addc_co_u32_e32 v5, vcc, v1, v3, vcc
	v_mov_b32_e32 v1, s50
	v_add_co_u32_e32 v10, vcc, s25, v2
	v_addc_co_u32_e32 v11, vcc, v1, v3, vcc
	global_load_dword v6, v[4:5], off offset:8
	s_nop 0
	global_load_dword v4, v[10:11], off offset:8
	s_andn2_b64 vcc, exec, s[16:17]
	s_cbranch_vccnz .LBB7_24
; %bb.13:                               ;   in Loop: Header=BB7_6 Depth=1
	s_and_b64 vcc, exec, s[36:37]
	s_cbranch_vccz .LBB7_18
; %bb.14:                               ;   in Loop: Header=BB7_6 Depth=1
	s_mov_b64 s[44:45], -1
	v_mov_b32_e32 v8, 1
	s_and_saveexec_b64 s[8:9], s[4:5]
	s_cbranch_execz .LBB7_19
; %bb.15:                               ;   in Loop: Header=BB7_6 Depth=1
	v_add_co_u32_e32 v1, vcc, 8, v10
	v_addc_co_u32_e32 v5, vcc, 0, v11, vcc
	v_add_co_u32_e32 v1, vcc, 4, v1
	v_addc_co_u32_e32 v5, vcc, 0, v5, vcc
	s_mov_b32 s44, 0
	v_mov_b32_e32 v7, 0
.LBB7_16:                               ;   Parent Loop BB7_6 Depth=1
                                        ; =>  This Inner Loop Header: Depth=2
	s_ashr_i32 s45, s44, 31
	s_lshl_b64 s[46:47], s[44:45], 2
	v_mov_b32_e32 v9, s47
	v_add_co_u32_e32 v8, vcc, s46, v1
	v_addc_co_u32_e32 v9, vcc, v5, v9, vcc
	global_load_dwordx2 v[8:9], v[8:9], off
	s_add_i32 s44, s44, 2
	s_cmp_lg_u32 s73, s44
	s_waitcnt vmcnt(0)
	v_add_u32_e32 v7, v9, v7
	v_add_u32_e32 v4, v8, v4
	s_cbranch_scc1 .LBB7_16
; %bb.17:                               ;   in Loop: Header=BB7_6 Depth=1
	v_add_u32_e32 v4, v4, v7
	v_mov_b32_e32 v8, s74
	s_orn2_b64 s[44:45], s[38:39], exec
	s_or_b64 exec, exec, s[8:9]
	s_and_saveexec_b64 s[8:9], s[44:45]
	s_cbranch_execnz .LBB7_20
	s_branch .LBB7_23
.LBB7_18:                               ;   in Loop: Header=BB7_6 Depth=1
	v_mov_b32_e32 v8, 1
	s_mov_b64 s[44:45], s[34:35]
	s_and_saveexec_b64 s[8:9], s[44:45]
	s_cbranch_execnz .LBB7_20
	s_branch .LBB7_23
.LBB7_19:                               ;   in Loop: Header=BB7_6 Depth=1
	s_or_b64 exec, exec, s[8:9]
	s_and_saveexec_b64 s[8:9], s[44:45]
	s_cbranch_execz .LBB7_23
.LBB7_20:                               ;   in Loop: Header=BB7_6 Depth=1
	v_ashrrev_i32_e32 v9, 31, v8
	v_lshlrev_b64 v[10:11], 2, v[8:9]
	v_mov_b32_e32 v1, s11
	v_add_co_u32_e32 v5, vcc, s10, v10
	v_addc_co_u32_e32 v1, vcc, v1, v11, vcc
	v_add_co_u32_e32 v10, vcc, v20, v5
	v_addc_co_u32_e32 v11, vcc, v21, v1, vcc
	v_sub_u32_e32 v1, s70, v8
	s_mov_b64 s[44:45], 0
.LBB7_21:                               ;   Parent Loop BB7_6 Depth=1
                                        ; =>  This Inner Loop Header: Depth=2
	global_load_dword v5, v[10:11], off
	v_add_co_u32_e32 v10, vcc, 4, v10
	v_addc_co_u32_e32 v11, vcc, 0, v11, vcc
	v_add_u32_e32 v1, -1, v1
	v_cmp_eq_u32_e32 vcc, 0, v1
	s_or_b64 s[44:45], vcc, s[44:45]
	s_waitcnt vmcnt(0)
	v_add_u32_e32 v4, v5, v4
	s_andn2_b64 exec, exec, s[44:45]
	s_cbranch_execnz .LBB7_21
; %bb.22:                               ;   in Loop: Header=BB7_6 Depth=1
	s_or_b64 exec, exec, s[44:45]
.LBB7_23:                               ;   in Loop: Header=BB7_6 Depth=1
	s_or_b64 exec, exec, s[8:9]
.LBB7_24:                               ;   in Loop: Header=BB7_6 Depth=1
	s_waitcnt vmcnt(0)
	v_add3_u32 v1, v6, v4, -1
	v_cndmask_b32_e64 v8, v6, v1, s[2:3]
	v_ashrrev_i32_e32 v9, 31, v8
	v_lshlrev_b64 v[8:9], 2, v[8:9]
	v_add_co_u32_e32 v8, vcc, v17, v8
	v_addc_co_u32_e32 v9, vcc, v18, v9, vcc
	global_load_dword v9, v[8:9], off
	v_cmp_lt_i32_e32 vcc, v19, v4
	v_mov_b32_e32 v1, 0
	v_mov_b32_e32 v5, 0
	s_and_saveexec_b64 s[44:45], vcc
	s_cbranch_execz .LBB7_30
; %bb.25:                               ;   in Loop: Header=BB7_6 Depth=1
	v_ashrrev_i32_e32 v7, 31, v6
	v_lshlrev_b64 v[10:11], 2, v[6:7]
	v_mov_b32_e32 v1, s68
	v_add_co_u32_e32 v7, vcc, s67, v10
	v_ashrrev_i32_e32 v5, 31, v4
	v_addc_co_u32_e32 v1, vcc, v1, v11, vcc
	v_lshlrev_b64 v[12:13], 2, v[4:5]
	v_add_co_u32_e32 v5, vcc, v7, v12
	v_addc_co_u32_e32 v1, vcc, v1, v13, vcc
	v_mov_b32_e32 v7, s13
	v_add_co_u32_e32 v8, vcc, s12, v10
	v_add_u32_e32 v12, v19, v6
	v_addc_co_u32_e32 v7, vcc, v7, v11, vcc
	v_ashrrev_i32_e32 v13, 31, v12
	v_cndmask_b32_e64 v1, v7, v1, s[2:3]
	v_lshlrev_b64 v[6:7], 2, v[12:13]
	v_cndmask_b32_e64 v8, v8, v5, s[2:3]
	v_mov_b32_e32 v5, s63
	v_add_co_u32_e32 v10, vcc, s62, v6
	v_addc_co_u32_e32 v11, vcc, v5, v7, vcc
	v_mul_lo_u32 v12, s23, v12
	s_mov_b64 s[8:9], 0
	v_mov_b32_e32 v5, v19
.LBB7_26:                               ;   Parent Loop BB7_6 Depth=1
                                        ; =>  This Inner Loop Header: Depth=2
	v_ashrrev_i32_e32 v13, 31, v12
	v_lshlrev_b64 v[24:25], 2, v[12:13]
	v_add_co_u32_e32 v24, vcc, v8, v24
	v_addc_co_u32_e32 v25, vcc, v1, v25, vcc
	flat_load_dword v13, v[24:25]
	v_add_u32_e32 v5, s72, v5
	v_cmp_ge_i32_e32 vcc, v5, v4
	s_or_b64 s[8:9], vcc, s[8:9]
	v_mov_b32_e32 v34, s15
	v_add_u32_e32 v12, s80, v12
	s_waitcnt vmcnt(0) lgkmcnt(0)
	v_cvt_f64_f32_e32 v[24:25], v13
	v_div_scale_f64 v[26:27], s[46:47], s[18:19], s[18:19], v[24:25]
	v_rcp_f64_e32 v[30:31], v[26:27]
	v_div_scale_f64 v[28:29], vcc, v[24:25], s[18:19], v[24:25]
	v_fma_f64 v[32:33], -v[26:27], v[30:31], 1.0
	v_fmac_f64_e32 v[30:31], v[30:31], v[32:33]
	v_fma_f64 v[32:33], -v[26:27], v[30:31], 1.0
	v_fmac_f64_e32 v[30:31], v[30:31], v[32:33]
	v_mul_f64 v[32:33], v[28:29], v[30:31]
	v_fma_f64 v[26:27], -v[26:27], v[32:33], v[28:29]
	v_div_fmas_f64 v[26:27], v[26:27], v[30:31], v[32:33]
	v_div_fixup_f64 v[24:25], v[26:27], s[18:19], v[24:25]
	v_cvt_f32_f64_e32 v13, v[24:25]
	global_store_dword v[10:11], v13, off
	v_add_co_u32_e32 v10, vcc, s79, v10
	v_addc_co_u32_e32 v11, vcc, v11, v34, vcc
	s_andn2_b64 exec, exec, s[8:9]
	s_cbranch_execnz .LBB7_26
; %bb.27:                               ;   in Loop: Header=BB7_6 Depth=1
	s_or_b64 exec, exec, s[8:9]
	s_mov_b64 s[46:47], 0
	v_mov_b32_e32 v1, 0
	v_mov_b32_e32 v8, v19
	;; [unrolled: 1-line block ×3, first 2 shown]
.LBB7_28:                               ;   Parent Loop BB7_6 Depth=1
                                        ; =>  This Inner Loop Header: Depth=2
	v_mov_b32_e32 v11, s59
	v_add_co_u32_e64 v12, s[8:9], s58, v6
	v_mov_b32_e32 v24, s63
	v_add_co_u32_e32 v10, vcc, s62, v6
	v_addc_co_u32_e64 v13, s[8:9], v11, v7, s[8:9]
	v_addc_co_u32_e32 v11, vcc, v24, v7, vcc
	global_load_dword v12, v[12:13], off
	s_nop 0
	global_load_dword v10, v[10:11], off
	v_mov_b32_e32 v11, s15
	v_add_co_u32_e32 v6, vcc, s79, v6
	v_add_u32_e32 v8, s72, v8
	v_addc_co_u32_e32 v7, vcc, v7, v11, vcc
	v_cmp_ge_i32_e32 vcc, v8, v4
	s_or_b64 s[46:47], vcc, s[46:47]
	s_waitcnt vmcnt(1)
	v_cmp_gt_f32_e64 s[8:9], |v12|, v5
	v_cndmask_b32_e64 v5, v5, |v12|, s[8:9]
	s_waitcnt vmcnt(0)
	v_cmp_gt_f32_e64 s[8:9], |v10|, v1
	v_cndmask_b32_e64 v1, v1, |v10|, s[8:9]
	s_andn2_b64 exec, exec, s[46:47]
	s_cbranch_execnz .LBB7_28
; %bb.29:                               ;   in Loop: Header=BB7_6 Depth=1
	s_or_b64 exec, exec, s[46:47]
.LBB7_30:                               ;   in Loop: Header=BB7_6 Depth=1
	s_or_b64 exec, exec, s[44:45]
	s_mov_b32 s44, s72
	ds_write_b32 v14, v5
	ds_write_b32 v15, v1
	s_waitcnt lgkmcnt(0)
	s_barrier
	s_branch .LBB7_32
.LBB7_31:                               ;   in Loop: Header=BB7_32 Depth=2
	s_or_b64 exec, exec, s[8:9]
	s_lshr_b32 s8, s44, 1
	s_cmp_gt_u32 s44, 1
	s_mov_b32 s44, s8
	s_waitcnt lgkmcnt(0)
	s_barrier
	s_cbranch_scc0 .LBB7_34
.LBB7_32:                               ;   Parent Loop BB7_6 Depth=1
                                        ; =>  This Inner Loop Header: Depth=2
	v_cmp_gt_u32_e32 vcc, s44, v0
	s_and_saveexec_b64 s[8:9], vcc
	s_cbranch_execz .LBB7_31
; %bb.33:                               ;   in Loop: Header=BB7_32 Depth=2
	s_lshl_b32 s45, s44, 2
	v_add_u32_e32 v4, s45, v14
	ds_read_b32 v4, v4
	v_add_u32_e32 v6, s45, v15
	ds_read_b32 v6, v6
	s_waitcnt lgkmcnt(1)
	v_cmp_gt_f32_e32 vcc, v4, v5
	v_cndmask_b32_e32 v5, v5, v4, vcc
	s_waitcnt lgkmcnt(0)
	v_cmp_gt_f32_e32 vcc, v6, v1
	v_cndmask_b32_e32 v1, v1, v6, vcc
	ds_write_b32 v14, v5
	ds_write_b32 v15, v1
	s_branch .LBB7_31
.LBB7_34:                               ;   in Loop: Header=BB7_6 Depth=1
	s_add_u32 s8, s25, s42
	s_addc_u32 s9, s50, s43
	global_load_dword v5, v22, s[8:9] offset:8
	ds_read_b32 v1, v22
	v_mov_b32_e32 v4, s66
	ds_read_b32 v4, v4
	s_add_u32 s8, s8, 8
	s_addc_u32 s9, s9, 0
	s_andn2_b64 vcc, exec, s[28:29]
	s_waitcnt vmcnt(0)
	v_readfirstlane_b32 s25, v5
	s_cbranch_vccnz .LBB7_42
; %bb.35:                               ;   in Loop: Header=BB7_6 Depth=1
	s_and_b64 vcc, exec, s[40:41]
	s_cbranch_vccz .LBB7_39
; %bb.36:                               ;   in Loop: Header=BB7_6 Depth=1
	s_add_u32 s44, s8, 4
	s_addc_u32 s45, s9, 0
	s_mov_b32 s8, 0
	s_mov_b32 s46, 0
.LBB7_37:                               ;   Parent Loop BB7_6 Depth=1
                                        ; =>  This Inner Loop Header: Depth=2
	s_ashr_i32 s9, s8, 31
	s_lshl_b64 s[50:51], s[8:9], 2
	s_add_u32 s50, s44, s50
	s_addc_u32 s51, s45, s51
	global_load_dwordx2 v[6:7], v22, s[50:51]
	s_add_i32 s8, s8, 2
	s_waitcnt vmcnt(0)
	v_readfirstlane_b32 s9, v7
	v_readfirstlane_b32 s47, v6
	s_add_i32 s46, s9, s46
	s_add_i32 s25, s47, s25
	s_cmp_lg_u32 s81, s8
	s_cbranch_scc1 .LBB7_37
; %bb.38:                               ;   in Loop: Header=BB7_6 Depth=1
	s_add_i32 s25, s25, s46
	s_mov_b32 s44, s75
	s_branch .LBB7_40
.LBB7_39:                               ;   in Loop: Header=BB7_6 Depth=1
	s_mov_b32 s44, 1
.LBB7_40:                               ;   in Loop: Header=BB7_6 Depth=1
	s_ashr_i32 s45, s44, 31
	s_lshl_b64 s[8:9], s[44:45], 2
	s_add_u32 s8, s10, s8
	s_addc_u32 s9, s11, s9
	s_add_u32 s8, s82, s8
	s_addc_u32 s9, s83, s9
	s_sub_i32 s10, s71, s44
.LBB7_41:                               ;   Parent Loop BB7_6 Depth=1
                                        ; =>  This Inner Loop Header: Depth=2
	global_load_dword v5, v22, s[8:9]
	s_waitcnt vmcnt(0)
	v_readfirstlane_b32 s11, v5
	s_add_i32 s25, s11, s25
	s_add_u32 s8, s8, 4
	s_addc_u32 s9, s9, 0
	s_add_i32 s10, s10, -1
	s_cmp_eq_u32 s10, 0
	s_cbranch_scc0 .LBB7_41
.LBB7_42:                               ;   in Loop: Header=BB7_6 Depth=1
	s_add_u32 s8, s48, s42
	s_addc_u32 s9, s49, s43
	global_load_dword v5, v22, s[8:9] offset:8
	s_waitcnt lgkmcnt(0)
	v_cmp_gt_f32_e32 vcc, v4, v1
	v_cndmask_b32_e32 v4, v1, v4, vcc
	v_add_f32_e32 v1, v9, v9
	v_mul_f32_e32 v24, v16, v4
	v_cmp_gt_i32_e32 vcc, s25, v0
	s_waitcnt vmcnt(0)
	v_readfirstlane_b32 s44, v5
	s_and_saveexec_b64 s[8:9], vcc
	s_cbranch_execz .LBB7_45
; %bb.43:                               ;   in Loop: Header=BB7_6 Depth=1
	s_mov_b64 s[10:11], 0
	v_mov_b32_e32 v4, v0
.LBB7_44:                               ;   Parent Loop BB7_6 Depth=1
                                        ; =>  This Inner Loop Header: Depth=2
	v_add_u32_e32 v6, s44, v4
	v_ashrrev_i32_e32 v7, 31, v6
	v_lshlrev_b64 v[6:7], 2, v[6:7]
	v_mov_b32_e32 v5, s63
	v_add_co_u32_e32 v8, vcc, s62, v6
	v_addc_co_u32_e32 v9, vcc, v5, v7, vcc
	global_load_dword v5, v[8:9], off
	v_add_u32_e32 v4, s65, v4
	v_cmp_le_i32_e32 vcc, s25, v4
	v_mov_b32_e32 v8, s76
	s_or_b64 s[10:11], vcc, s[10:11]
	v_add_co_u32_e32 v6, vcc, s20, v6
	v_addc_co_u32_e32 v7, vcc, v8, v7, vcc
	s_waitcnt vmcnt(0)
	v_mul_f32_e32 v5, v1, v5
	v_cmp_nle_f32_e64 s[46:47], |v5|, v24
	v_cndmask_b32_e64 v5, 0, 1, s[46:47]
	global_store_dword v[6:7], v5, off
	s_andn2_b64 exec, exec, s[10:11]
	s_cbranch_execnz .LBB7_44
.LBB7_45:                               ;   in Loop: Header=BB7_6 Depth=1
	s_or_b64 exec, exec, s[8:9]
	s_and_b32 s8, s25, 0x80000001
	s_cmp_eq_u32 s8, 1
	s_cselect_b64 s[8:9], -1, 0
	s_cmp_lg_u64 s[8:9], 0
	s_addc_u32 s45, s25, 0
	s_cmp_lt_i32 s45, 2
	s_barrier
	s_cbranch_scc1 .LBB7_83
; %bb.46:                               ;   in Loop: Header=BB7_6 Depth=1
	s_lshr_b32 s8, s45, 31
	s_add_i32 s8, s45, s8
	s_ashr_i32 s85, s8, 1
	s_add_i32 s86, s45, -1
	v_cmp_gt_i32_e64 s[8:9], s85, v0
	s_add_i32 s87, s85, -1
	s_add_i32 s88, s45, -2
	s_mov_b32 s89, 0
	s_branch .LBB7_48
.LBB7_47:                               ;   in Loop: Header=BB7_48 Depth=2
	s_or_b64 exec, exec, s[46:47]
	s_add_i32 s89, s89, 1
	s_cmp_eq_u32 s89, s86
	s_cbranch_scc1 .LBB7_83
.LBB7_48:                               ;   Parent Loop BB7_6 Depth=1
                                        ; =>  This Loop Header: Depth=2
                                        ;       Child Loop BB7_51 Depth 3
                                        ;         Child Loop BB7_82 Depth 4
	s_and_saveexec_b64 s[46:47], s[8:9]
	s_cbranch_execz .LBB7_47
; %bb.49:                               ;   in Loop: Header=BB7_48 Depth=2
	s_mov_b64 s[48:49], 0
	v_mov_b32_e32 v25, v0
	s_branch .LBB7_51
.LBB7_50:                               ;   in Loop: Header=BB7_51 Depth=3
	s_or_b64 exec, exec, s[50:51]
	v_add_u32_e32 v25, s65, v25
	v_cmp_le_i32_e32 vcc, s85, v25
	s_or_b64 s[48:49], vcc, s[48:49]
	s_waitcnt lgkmcnt(0)
	s_barrier
	s_andn2_b64 exec, exec, s[48:49]
	s_cbranch_execz .LBB7_47
.LBB7_51:                               ;   Parent Loop BB7_6 Depth=1
                                        ;     Parent Loop BB7_48 Depth=2
                                        ; =>    This Loop Header: Depth=3
                                        ;         Child Loop BB7_82 Depth 4
	v_cmp_ne_u32_e32 vcc, 0, v25
	v_mov_b32_e32 v6, 0
	s_and_saveexec_b64 s[10:11], vcc
	s_cbranch_execz .LBB7_59
; %bb.52:                               ;   in Loop: Header=BB7_51 Depth=3
	v_subrev_u32_e32 v4, s89, v25
	v_lshlrev_b32_e32 v6, 1, v4
	v_cmp_ge_u32_e32 vcc, s89, v25
	s_and_saveexec_b64 s[50:51], vcc
	s_cbranch_execz .LBB7_58
; %bb.53:                               ;   in Loop: Header=BB7_51 Depth=3
	v_add_u32_e32 v5, s87, v25
	v_cmp_le_i32_e32 vcc, s89, v5
	s_and_saveexec_b64 s[52:53], vcc
	s_xor_b64 s[52:53], exec, s[52:53]
; %bb.54:                               ;   in Loop: Header=BB7_51 Depth=3
	v_sub_u32_e32 v6, 1, v6
                                        ; implicit-def: $vgpr4
; %bb.55:                               ;   in Loop: Header=BB7_51 Depth=3
	s_andn2_saveexec_b64 s[52:53], s[52:53]
; %bb.56:                               ;   in Loop: Header=BB7_51 Depth=3
	v_add_lshl_u32 v6, v4, s86, 1
; %bb.57:                               ;   in Loop: Header=BB7_51 Depth=3
	s_or_b64 exec, exec, s[52:53]
.LBB7_58:                               ;   in Loop: Header=BB7_51 Depth=3
	s_or_b64 exec, exec, s[50:51]
.LBB7_59:                               ;   in Loop: Header=BB7_51 Depth=3
	s_or_b64 exec, exec, s[10:11]
	v_sub_u32_e32 v5, s85, v25
	v_add_u32_e32 v4, s89, v25
	v_cmp_ge_i32_e32 vcc, s89, v5
                                        ; implicit-def: $vgpr7
	s_and_saveexec_b64 s[10:11], vcc
	s_xor_b64 s[10:11], exec, s[10:11]
	s_cbranch_execz .LBB7_65
; %bb.60:                               ;   in Loop: Header=BB7_51 Depth=3
	v_sub_u32_e32 v5, s88, v25
	v_cmp_le_i32_e32 vcc, s89, v5
                                        ; implicit-def: $vgpr7
	s_and_saveexec_b64 s[50:51], vcc
	s_xor_b64 s[50:51], exec, s[50:51]
; %bb.61:                               ;   in Loop: Header=BB7_51 Depth=3
	v_sub_u32_e32 v4, s86, v4
	v_lshlrev_b32_e32 v7, 1, v4
                                        ; implicit-def: $vgpr4
; %bb.62:                               ;   in Loop: Header=BB7_51 Depth=3
	s_andn2_saveexec_b64 s[50:51], s[50:51]
; %bb.63:                               ;   in Loop: Header=BB7_51 Depth=3
	v_subrev_u32_e32 v4, s45, v4
	v_lshl_add_u32 v7, v4, 1, 3
; %bb.64:                               ;   in Loop: Header=BB7_51 Depth=3
	s_or_b64 exec, exec, s[50:51]
                                        ; implicit-def: $vgpr4
.LBB7_65:                               ;   in Loop: Header=BB7_51 Depth=3
	s_andn2_saveexec_b64 s[10:11], s[10:11]
; %bb.66:                               ;   in Loop: Header=BB7_51 Depth=3
	v_lshl_or_b32 v7, v4, 1, 1
; %bb.67:                               ;   in Loop: Header=BB7_51 Depth=3
	s_or_b64 exec, exec, s[10:11]
	v_min_i32_e32 v4, v6, v7
	v_add_u32_e32 v4, s44, v4
	v_ashrrev_i32_e32 v5, 31, v4
	v_lshlrev_b64 v[10:11], 2, v[4:5]
	v_mov_b32_e32 v5, s76
	v_add_co_u32_e32 v8, vcc, s20, v10
	v_addc_co_u32_e32 v9, vcc, v5, v11, vcc
	global_load_dword v5, v[8:9], off
	s_waitcnt vmcnt(0)
	v_cmp_eq_u32_e32 vcc, 1, v5
	s_and_saveexec_b64 s[50:51], vcc
	s_cbranch_execz .LBB7_50
; %bb.68:                               ;   in Loop: Header=BB7_51 Depth=3
	v_max_i32_e32 v5, v6, v7
	v_add_u32_e32 v6, s44, v5
	v_ashrrev_i32_e32 v7, 31, v6
	v_lshlrev_b64 v[8:9], 2, v[6:7]
	v_mov_b32_e32 v7, s76
	v_add_co_u32_e32 v12, vcc, s20, v8
	v_addc_co_u32_e32 v13, vcc, v7, v9, vcc
	global_load_dword v7, v[12:13], off
	v_cmp_gt_i32_e64 s[10:11], s25, v5
	s_waitcnt vmcnt(0)
	v_cmp_eq_u32_e32 vcc, 1, v7
	s_and_b64 s[10:11], vcc, s[10:11]
	s_and_b64 exec, exec, s[10:11]
	s_cbranch_execz .LBB7_50
; %bb.69:                               ;   in Loop: Header=BB7_51 Depth=3
	v_mov_b32_e32 v5, s59
	v_add_co_u32_e32 v26, vcc, s58, v10
	v_addc_co_u32_e32 v27, vcc, v5, v11, vcc
	v_add_co_u32_e32 v28, vcc, s58, v8
	v_addc_co_u32_e32 v29, vcc, v5, v9, vcc
	global_load_dword v5, v[26:27], off
	global_load_dword v7, v[28:29], off
	s_waitcnt vmcnt(0)
	v_sub_f32_e32 v5, v5, v7
	v_cmp_le_f32_e64 s[10:11], |v5|, v24
	s_and_b64 exec, exec, s[10:11]
	s_cbranch_execz .LBB7_50
; %bb.70:                               ;   in Loop: Header=BB7_51 Depth=3
	v_mov_b32_e32 v5, s63
	v_add_co_u32_e32 v8, vcc, s62, v8
	v_addc_co_u32_e32 v9, vcc, v5, v9, vcc
	v_add_co_u32_e32 v10, vcc, s62, v10
	global_load_dword v7, v[8:9], off
	v_addc_co_u32_e32 v11, vcc, v5, v11, vcc
	global_load_dword v5, v[10:11], off
	s_waitcnt vmcnt(1)
	v_cmp_neq_f32_e32 vcc, 0, v7
	global_store_dword v[12:13], v22, off
	v_mov_b32_e32 v13, 1.0
	v_mov_b32_e32 v12, 0
	s_and_saveexec_b64 s[52:53], vcc
	s_cbranch_execz .LBB7_80
; %bb.71:                               ;   in Loop: Header=BB7_51 Depth=3
	s_waitcnt vmcnt(1)
	v_cmp_neq_f32_e32 vcc, 0, v5
                                        ; implicit-def: $vgpr12
                                        ; implicit-def: $vgpr13
	s_and_saveexec_b64 s[10:11], vcc
	s_xor_b64 s[54:55], exec, s[10:11]
	s_cbranch_execz .LBB7_77
; %bb.72:                               ;   in Loop: Header=BB7_51 Depth=3
	v_cmp_ngt_f32_e64 s[10:11], |v7|, |v5|
                                        ; implicit-def: $vgpr12
                                        ; implicit-def: $vgpr13
	s_and_saveexec_b64 s[56:57], s[10:11]
	s_xor_b64 s[56:57], exec, s[56:57]
	s_cbranch_execz .LBB7_74
; %bb.73:                               ;   in Loop: Header=BB7_51 Depth=3
	v_div_scale_f32 v12, s[10:11], v5, v5, -v7
	v_rcp_f32_e32 v13, v12
	v_div_scale_f32 v26, vcc, -v7, v5, -v7
	v_fma_f32 v27, -v12, v13, 1.0
	v_fmac_f32_e32 v13, v27, v13
	v_mul_f32_e32 v27, v26, v13
	v_fma_f32 v28, -v12, v27, v26
	v_fmac_f32_e32 v27, v28, v13
	v_fma_f32 v12, -v12, v27, v26
	v_div_fmas_f32 v12, v12, v13, v27
	v_div_fixup_f32 v12, v12, v5, -v7
	v_fma_f32 v13, v12, v12, 1.0
	v_mul_f32_e32 v26, 0x4f800000, v13
	v_cmp_gt_f32_e32 vcc, s84, v13
	v_cndmask_b32_e32 v13, v13, v26, vcc
	v_sqrt_f32_e32 v26, v13
	v_add_u32_e32 v27, -1, v26
	v_fma_f32 v28, -v27, v26, v13
	v_cmp_ge_f32_e64 s[10:11], 0, v28
	v_add_u32_e32 v28, 1, v26
	v_cndmask_b32_e64 v27, v26, v27, s[10:11]
	v_fma_f32 v26, -v28, v26, v13
	v_cmp_lt_f32_e64 s[10:11], 0, v26
	v_cndmask_b32_e64 v26, v27, v28, s[10:11]
	v_mul_f32_e32 v27, 0x37800000, v26
	v_cndmask_b32_e32 v26, v26, v27, vcc
	v_cmp_class_f32_e32 vcc, v13, v23
	v_cndmask_b32_e32 v13, v26, v13, vcc
	v_div_scale_f32 v26, s[10:11], v13, v13, 1.0
	v_rcp_f32_e32 v27, v26
	v_fma_f32 v28, -v26, v27, 1.0
	v_fmac_f32_e32 v27, v28, v27
	v_div_scale_f32 v28, vcc, 1.0, v13, 1.0
	v_mul_f32_e32 v29, v28, v27
	v_fma_f32 v30, -v26, v29, v28
	v_fmac_f32_e32 v29, v30, v27
	v_fma_f32 v26, -v26, v29, v28
	v_div_fmas_f32 v26, v26, v27, v29
	v_div_fixup_f32 v13, v26, v13, 1.0
	v_mul_f32_e32 v12, v12, v13
.LBB7_74:                               ;   in Loop: Header=BB7_51 Depth=3
	s_andn2_saveexec_b64 s[56:57], s[56:57]
	s_cbranch_execz .LBB7_76
; %bb.75:                               ;   in Loop: Header=BB7_51 Depth=3
	v_div_scale_f32 v12, s[10:11], v7, v7, -v5
	v_rcp_f32_e32 v13, v12
	v_div_scale_f32 v26, vcc, -v5, v7, -v5
	v_fma_f32 v27, -v12, v13, 1.0
	v_fmac_f32_e32 v13, v27, v13
	v_mul_f32_e32 v27, v26, v13
	v_fma_f32 v28, -v12, v27, v26
	v_fmac_f32_e32 v27, v28, v13
	v_fma_f32 v12, -v12, v27, v26
	v_div_fmas_f32 v12, v12, v13, v27
	v_div_fixup_f32 v13, v12, v7, -v5
	v_fma_f32 v12, v13, v13, 1.0
	v_mul_f32_e32 v26, 0x4f800000, v12
	v_cmp_gt_f32_e32 vcc, s84, v12
	v_cndmask_b32_e32 v12, v12, v26, vcc
	v_sqrt_f32_e32 v26, v12
	v_add_u32_e32 v27, -1, v26
	v_fma_f32 v28, -v27, v26, v12
	v_cmp_ge_f32_e64 s[10:11], 0, v28
	v_add_u32_e32 v28, 1, v26
	v_cndmask_b32_e64 v27, v26, v27, s[10:11]
	v_fma_f32 v26, -v28, v26, v12
	v_cmp_lt_f32_e64 s[10:11], 0, v26
	v_cndmask_b32_e64 v26, v27, v28, s[10:11]
	v_mul_f32_e32 v27, 0x37800000, v26
	v_cndmask_b32_e32 v26, v26, v27, vcc
	v_cmp_class_f32_e32 vcc, v12, v23
	v_cndmask_b32_e32 v12, v26, v12, vcc
	v_div_scale_f32 v26, s[10:11], v12, v12, 1.0
	v_rcp_f32_e32 v27, v26
	v_fma_f32 v28, -v26, v27, 1.0
	v_fmac_f32_e32 v27, v28, v27
	v_div_scale_f32 v28, vcc, 1.0, v12, 1.0
	v_mul_f32_e32 v29, v28, v27
	v_fma_f32 v30, -v26, v29, v28
	v_fmac_f32_e32 v29, v30, v27
	v_fma_f32 v26, -v26, v29, v28
	v_div_fmas_f32 v26, v26, v27, v29
	v_div_fixup_f32 v12, v26, v12, 1.0
	v_mul_f32_e32 v13, v13, v12
.LBB7_76:                               ;   in Loop: Header=BB7_51 Depth=3
	s_or_b64 exec, exec, s[56:57]
	v_mul_f32_e32 v7, v7, v12
	v_fma_f32 v5, v5, v13, -v7
                                        ; implicit-def: $vgpr7
.LBB7_77:                               ;   in Loop: Header=BB7_51 Depth=3
	s_andn2_saveexec_b64 s[10:11], s[54:55]
; %bb.78:                               ;   in Loop: Header=BB7_51 Depth=3
	v_xor_b32_e32 v5, 0x80000000, v7
	v_mov_b32_e32 v12, 1.0
	v_mov_b32_e32 v13, 0
; %bb.79:                               ;   in Loop: Header=BB7_51 Depth=3
	s_or_b64 exec, exec, s[10:11]
.LBB7_80:                               ;   in Loop: Header=BB7_51 Depth=3
	s_or_b64 exec, exec, s[52:53]
	s_andn2_b64 vcc, exec, s[30:31]
	s_waitcnt vmcnt(1)
	global_store_dword v[10:11], v5, off
	global_store_dword v[8:9], v22, off
	s_cbranch_vccnz .LBB7_50
; %bb.81:                               ;   in Loop: Header=BB7_51 Depth=3
	v_mul_lo_u32 v8, v4, s23
	v_mul_lo_u32 v4, v6, s23
	v_ashrrev_i32_e32 v5, 31, v4
	v_lshlrev_b64 v[4:5], 2, v[4:5]
	v_mov_b32_e32 v10, s13
	v_add_co_u32_e32 v4, vcc, s12, v4
	v_ashrrev_i32_e32 v9, 31, v8
	v_addc_co_u32_e32 v5, vcc, v10, v5, vcc
	v_lshlrev_b64 v[6:7], 2, v[8:9]
	v_add_co_u32_e32 v6, vcc, s12, v6
	v_addc_co_u32_e32 v7, vcc, v10, v7, vcc
	s_mov_b32 s10, s21
.LBB7_82:                               ;   Parent Loop BB7_6 Depth=1
                                        ;     Parent Loop BB7_48 Depth=2
                                        ;       Parent Loop BB7_51 Depth=3
                                        ; =>      This Inner Loop Header: Depth=4
	flat_load_dword v8, v[4:5]
	flat_load_dword v9, v[6:7]
	s_add_i32 s10, s10, -1
	s_cmp_lg_u32 s10, 0
	s_waitcnt vmcnt(0) lgkmcnt(0)
	v_mul_f32_e32 v10, v12, v8
	v_mul_f32_e32 v8, v13, v8
	v_fma_f32 v10, v13, v9, -v10
	v_fmac_f32_e32 v8, v12, v9
	flat_store_dword v[6:7], v10
	flat_store_dword v[4:5], v8
	v_add_co_u32_e32 v4, vcc, 4, v4
	v_addc_co_u32_e32 v5, vcc, 0, v5, vcc
	v_add_co_u32_e32 v6, vcc, 4, v6
	v_addc_co_u32_e32 v7, vcc, 0, v7, vcc
	s_cbranch_scc1 .LBB7_82
	s_branch .LBB7_50
.LBB7_83:                               ;   in Loop: Header=BB7_6 Depth=1
	s_cmp_lt_i32 s25, 1
	s_cbranch_scc1 .LBB7_5
; %bb.84:                               ;   in Loop: Header=BB7_6 Depth=1
	s_mul_i32 s8, s44, s21
	s_ashr_i32 s9, s8, 31
	s_lshl_b64 s[8:9], s[8:9], 2
	s_add_u32 s56, s14, s8
	s_addc_u32 s57, s64, s9
	s_ashr_i32 s45, s44, 31
	s_lshl_b64 s[48:49], s[44:45], 2
	s_add_u32 s10, s58, s48
	s_addc_u32 s11, s59, s49
	s_add_u32 s44, s62, s48
	s_addc_u32 s45, s63, s49
	;; [unrolled: 2-line block ×3, first 2 shown]
	s_add_u32 s85, s77, s48
	v_cmp_gt_f32_e64 s[8:9], 0, v1
	s_addc_u32 s86, s78, s49
	s_mov_b32 s87, 0
	s_mov_b64 s[48:49], s[44:45]
	s_mov_b32 s50, 0
	s_branch .LBB7_87
.LBB7_85:                               ;   in Loop: Header=BB7_87 Depth=2
	s_or_b64 exec, exec, s[52:53]
	s_add_i32 s50, s50, 1
.LBB7_86:                               ;   in Loop: Header=BB7_87 Depth=2
	s_add_i32 s87, s87, 1
	s_add_u32 s46, s46, 4
	s_addc_u32 s47, s47, 0
	s_add_u32 s10, s10, 4
	s_addc_u32 s11, s11, 0
	;; [unrolled: 2-line block ×3, first 2 shown]
	s_cmp_lg_u32 s25, s87
	s_cbranch_scc0 .LBB7_5
.LBB7_87:                               ;   Parent Loop BB7_6 Depth=1
                                        ; =>  This Inner Loop Header: Depth=2
	global_load_dword v1, v22, s[46:47]
	s_waitcnt vmcnt(0)
	v_cmp_ne_u32_e32 vcc, 1, v1
	s_cbranch_vccnz .LBB7_86
; %bb.88:                               ;   in Loop: Header=BB7_87 Depth=2
	s_and_saveexec_b64 s[52:53], s[0:1]
	s_cbranch_execz .LBB7_85
; %bb.89:                               ;   in Loop: Header=BB7_87 Depth=2
	global_load_dword v1, v22, s[10:11]
	s_ashr_i32 s51, s50, 31
	s_lshl_b64 s[54:55], s[50:51], 2
	s_add_u32 s88, s85, s54
	v_mov_b32_e32 v4, s87
	s_addc_u32 s89, s86, s55
	global_store_dword v22, v4, s[88:89]
	s_add_u32 s88, s56, s54
	s_addc_u32 s89, s57, s55
	s_cmp_eq_u32 s87, s50
	s_waitcnt vmcnt(1)
	v_cndmask_b32_e64 v1, v1, -v1, s[8:9]
	global_store_dword v22, v1, s[88:89]
	s_cbranch_scc1 .LBB7_85
; %bb.90:                               ;   in Loop: Header=BB7_87 Depth=2
	global_load_dword v1, v22, s[48:49]
	s_add_u32 s54, s44, s54
	s_addc_u32 s55, s45, s55
	s_waitcnt vmcnt(0)
	global_store_dword v22, v1, s[54:55]
	s_branch .LBB7_85
.LBB7_91:
	s_endpgm
.LBB7_92:
                                        ; implicit-def: $sgpr12_sgpr13
                                        ; implicit-def: $sgpr0_sgpr1
	s_branch .LBB7_2
	.section	.rodata,"a",@progbits
	.p2align	6, 0x0
	.amdhsa_kernel _ZN9rocsolver6v33100L26stedcx_mergePrepare_kernelIfEEviiPT_lS3_lS3_iilS3_S3_PiS2_
		.amdhsa_group_segment_fixed_size 0
		.amdhsa_private_segment_fixed_size 0
		.amdhsa_kernarg_size 352
		.amdhsa_user_sgpr_count 6
		.amdhsa_user_sgpr_private_segment_buffer 1
		.amdhsa_user_sgpr_dispatch_ptr 0
		.amdhsa_user_sgpr_queue_ptr 0
		.amdhsa_user_sgpr_kernarg_segment_ptr 1
		.amdhsa_user_sgpr_dispatch_id 0
		.amdhsa_user_sgpr_flat_scratch_init 0
		.amdhsa_user_sgpr_kernarg_preload_length 0
		.amdhsa_user_sgpr_kernarg_preload_offset 0
		.amdhsa_user_sgpr_private_segment_size 0
		.amdhsa_uses_dynamic_stack 0
		.amdhsa_system_sgpr_private_segment_wavefront_offset 0
		.amdhsa_system_sgpr_workgroup_id_x 1
		.amdhsa_system_sgpr_workgroup_id_y 1
		.amdhsa_system_sgpr_workgroup_id_z 1
		.amdhsa_system_sgpr_workgroup_info 0
		.amdhsa_system_vgpr_workitem_id 0
		.amdhsa_next_free_vgpr 35
		.amdhsa_next_free_sgpr 90
		.amdhsa_accum_offset 36
		.amdhsa_reserve_vcc 1
		.amdhsa_reserve_flat_scratch 0
		.amdhsa_float_round_mode_32 0
		.amdhsa_float_round_mode_16_64 0
		.amdhsa_float_denorm_mode_32 3
		.amdhsa_float_denorm_mode_16_64 3
		.amdhsa_dx10_clamp 1
		.amdhsa_ieee_mode 1
		.amdhsa_fp16_overflow 0
		.amdhsa_tg_split 0
		.amdhsa_exception_fp_ieee_invalid_op 0
		.amdhsa_exception_fp_denorm_src 0
		.amdhsa_exception_fp_ieee_div_zero 0
		.amdhsa_exception_fp_ieee_overflow 0
		.amdhsa_exception_fp_ieee_underflow 0
		.amdhsa_exception_fp_ieee_inexact 0
		.amdhsa_exception_int_div_zero 0
	.end_amdhsa_kernel
	.section	.text._ZN9rocsolver6v33100L26stedcx_mergePrepare_kernelIfEEviiPT_lS3_lS3_iilS3_S3_PiS2_,"axG",@progbits,_ZN9rocsolver6v33100L26stedcx_mergePrepare_kernelIfEEviiPT_lS3_lS3_iilS3_S3_PiS2_,comdat
.Lfunc_end7:
	.size	_ZN9rocsolver6v33100L26stedcx_mergePrepare_kernelIfEEviiPT_lS3_lS3_iilS3_S3_PiS2_, .Lfunc_end7-_ZN9rocsolver6v33100L26stedcx_mergePrepare_kernelIfEEviiPT_lS3_lS3_iilS3_S3_PiS2_
                                        ; -- End function
	.section	.AMDGPU.csdata,"",@progbits
; Kernel info:
; codeLenInByte = 3968
; NumSgprs: 94
; NumVgprs: 35
; NumAgprs: 0
; TotalNumVgprs: 35
; ScratchSize: 0
; MemoryBound: 0
; FloatMode: 240
; IeeeMode: 1
; LDSByteSize: 0 bytes/workgroup (compile time only)
; SGPRBlocks: 11
; VGPRBlocks: 4
; NumSGPRsForWavesPerEU: 94
; NumVGPRsForWavesPerEU: 35
; AccumOffset: 36
; Occupancy: 8
; WaveLimiterHint : 1
; COMPUTE_PGM_RSRC2:SCRATCH_EN: 0
; COMPUTE_PGM_RSRC2:USER_SGPR: 6
; COMPUTE_PGM_RSRC2:TRAP_HANDLER: 0
; COMPUTE_PGM_RSRC2:TGID_X_EN: 1
; COMPUTE_PGM_RSRC2:TGID_Y_EN: 1
; COMPUTE_PGM_RSRC2:TGID_Z_EN: 1
; COMPUTE_PGM_RSRC2:TIDIG_COMP_CNT: 0
; COMPUTE_PGM_RSRC3_GFX90A:ACCUM_OFFSET: 8
; COMPUTE_PGM_RSRC3_GFX90A:TG_SPLIT: 0
	.section	.text._ZN9rocsolver6v33100L25stedcx_mergeValues_kernelIfEEviiPT_lS3_lS3_S3_PiS2_S2_S2_,"axG",@progbits,_ZN9rocsolver6v33100L25stedcx_mergeValues_kernelIfEEviiPT_lS3_lS3_S3_PiS2_S2_S2_,comdat
	.globl	_ZN9rocsolver6v33100L25stedcx_mergeValues_kernelIfEEviiPT_lS3_lS3_S3_PiS2_S2_S2_ ; -- Begin function _ZN9rocsolver6v33100L25stedcx_mergeValues_kernelIfEEviiPT_lS3_lS3_S3_PiS2_S2_S2_
	.p2align	8
	.type	_ZN9rocsolver6v33100L25stedcx_mergeValues_kernelIfEEviiPT_lS3_lS3_S3_PiS2_S2_S2_,@function
_ZN9rocsolver6v33100L25stedcx_mergeValues_kernelIfEEviiPT_lS3_lS3_S3_PiS2_S2_S2_: ; @_ZN9rocsolver6v33100L25stedcx_mergeValues_kernelIfEEviiPT_lS3_lS3_S3_PiS2_S2_S2_
; %bb.0:
	s_load_dwordx2 s[2:3], s[4:5], 0x0
	s_load_dwordx2 s[10:11], s[4:5], 0x38
                                        ; implicit-def: $vgpr56 : SGPR spill to VGPR lane
	s_waitcnt lgkmcnt(0)
	s_mul_i32 s0, s3, 5
	s_add_i32 s0, s0, 2
	s_mul_i32 s0, s0, s8
	s_ashr_i32 s1, s0, 31
	s_lshl_b64 s[12:13], s[0:1], 2
	s_add_u32 s17, s10, s12
	s_addc_u32 s20, s11, s13
	s_ashr_i32 s23, s3, 31
	v_writelane_b32 v56, s2, 0
	s_mov_b32 s22, s3
	s_lshl_b64 s[24:25], s[22:23], 2
	s_add_u32 s0, s17, s24
	v_writelane_b32 v56, s3, 1
	s_addc_u32 s1, s20, s25
	v_writelane_b32 v56, s0, 2
	s_load_dword s21, s[0:1], 0x4
	v_writelane_b32 v56, s1, 3
	s_waitcnt lgkmcnt(0)
	s_cmp_ge_i32 s7, s21
	s_cbranch_scc1 .LBB8_287
; %bb.1:
	s_load_dwordx8 s[40:47], s[4:5], 0x8
	s_load_dwordx4 s[0:3], s[4:5], 0x28
	s_load_dword s37, s[4:5], 0x40
	s_mov_b32 s18, s7
	s_mov_b32 s16, s6
	s_ashr_i32 s9, s8, 31
	s_waitcnt lgkmcnt(0)
	s_mul_i32 s6, s8, s43
	s_mul_hi_u32 s7, s8, s42
	s_add_i32 s6, s7, s6
	s_mul_i32 s7, s9, s42
	s_add_i32 s7, s6, s7
	s_mul_i32 s6, s8, s42
	s_lshl_b64 s[6:7], s[6:7], 2
	s_add_u32 s38, s40, s6
	s_addc_u32 s39, s41, s7
	s_mul_i32 s6, s8, s47
	s_mul_hi_u32 s7, s8, s46
	s_add_i32 s6, s7, s6
	s_mul_i32 s9, s9, s46
	s_add_i32 s7, s6, s9
	s_mul_i32 s6, s8, s46
	s_lshl_b64 s[6:7], s[6:7], 2
	s_add_u32 s6, s44, s6
	v_writelane_b32 v56, s6, 4
	s_addc_u32 s6, s45, s7
	v_writelane_b32 v56, s6, 5
	v_readlane_b32 s6, v56, 2
	v_readlane_b32 s7, v56, 3
	s_add_u32 s6, s6, s24
	s_addc_u32 s7, s7, s25
	v_writelane_b32 v56, s6, 6
	s_add_u32 s6, s6, s24
	s_load_dwordx2 s[14:15], s[4:5], 0x0
	v_writelane_b32 v56, s7, 7
	s_addc_u32 s7, s7, s25
	v_writelane_b32 v56, s6, 8
	s_add_u32 s6, s6, s24
	v_writelane_b32 v56, s6, 9
	v_writelane_b32 v56, s7, 10
	s_addc_u32 s6, s7, s25
	s_lshl_b32 s8, s8, 1
	v_writelane_b32 v56, s6, 11
	s_waitcnt lgkmcnt(0)
	s_mul_i32 s6, s8, s15
	s_ashr_i32 s7, s6, 31
	s_lshl_b64 s[6:7], s[6:7], 2
	s_add_u32 s9, s0, s6
	s_addc_u32 s19, s1, s7
	s_mul_i32 s28, s15, s15
	s_add_u32 s34, s9, s24
	s_mul_i32 s0, s8, s28
	s_addc_u32 s35, s19, s25
	s_ashr_i32 s1, s0, 31
	s_mov_b32 s29, 0
	s_lshl_b64 s[0:1], s[0:1], 2
	s_lshl_b64 s[6:7], s[28:29], 2
	s_add_u32 s0, s0, s6
	s_addc_u32 s1, s1, s7
	s_add_u32 s0, s2, s0
	v_writelane_b32 v56, s0, 12
	s_addc_u32 s0, s3, s1
	v_writelane_b32 v56, s0, 13
	s_not_b32 s3, s14
	s_lshl_b32 s0, 1, s14
	s_lshl_b32 s2, 2, s14
	s_add_u32 s4, s4, 0x50
	s_addc_u32 s5, s5, 0
	v_writelane_b32 v56, s4, 14
	v_writelane_b32 v56, s5, 15
	s_mul_i32 s4, s2, s16
	s_cmp_gt_i32 s0, 1
	s_cselect_b64 s[6:7], -1, 0
	s_ashr_i32 s5, s4, 31
	v_writelane_b32 v56, s6, 16
	s_cmp_gt_i32 s2, 1
	v_writelane_b32 v56, s7, 17
	s_cselect_b64 s[6:7], -1, 0
	v_writelane_b32 v56, s6, 18
	v_writelane_b32 v56, s7, 19
	;; [unrolled: 1-line block ×3, first 2 shown]
	s_add_i32 s0, s0, -2
	s_max_u32 s7, s22, 1
	v_writelane_b32 v56, s0, 21
	s_or_b32 s0, s4, 1
	s_cmp_eq_u32 s14, 1
	v_cvt_f32_u32_e32 v1, s7
	v_writelane_b32 v56, s0, 22
	s_cselect_b64 s[26:27], -1, 0
	v_writelane_b32 v56, s26, 23
	s_cmp_lg_u32 s14, 1
	s_bfm_b32 s0, s14, 0
	v_writelane_b32 v56, s27, 24
	s_cselect_b64 s[26:27], -1, 0
	v_writelane_b32 v56, s26, 25
	s_and_b32 s28, s0, -2
	s_or_b32 s1, s0, 1
	v_rcp_iflag_f32_e32 v1, v1
	v_writelane_b32 v56, s27, 26
	s_cmp_lg_u32 s0, s28
	v_writelane_b32 v56, s1, 27
	s_cselect_b64 s[0:1], -1, 0
	v_writelane_b32 v56, s0, 28
	s_cmp_lg_u32 s14, 0
	v_writelane_b32 v56, s1, 29
	s_cselect_b64 s[0:1], -1, 0
	v_mul_f32_e32 v1, 0x4f7ffffe, v1
	v_writelane_b32 v56, s0, 30
	v_cvt_u32_f32_e32 v1, v1
	v_writelane_b32 v56, s1, 31
	s_add_i32 s0, s2, -1
	s_cmp_eq_u32 s22, 1
	v_writelane_b32 v56, s0, 32
	s_cselect_b64 s[48:49], -1, 0
	s_sub_i32 s0, 0, s7
	v_mul_lo_u32 v2, s0, v1
	s_add_u32 s0, s24, s12
	s_addc_u32 s1, s25, s13
	s_add_u32 s0, s0, s10
	s_addc_u32 s1, s1, s11
	;; [unrolled: 2-line block ×3, first 2 shown]
	v_writelane_b32 v56, s2, 33
	s_mov_b32 s0, s4
	v_writelane_b32 v56, s0, 34
	s_add_i32 s33, s2, -2
	v_writelane_b32 v56, s1, 35
	s_lshl_b64 s[44:45], s[4:5], 2
	v_writelane_b32 v56, s6, 36
	s_add_u32 s0, s6, s44
	v_writelane_b32 v56, s0, 37
	v_writelane_b32 v56, s1, 38
	s_addc_u32 s0, s1, s45
	s_mul_i32 s1, s22, 12
	v_writelane_b32 v56, s0, 39
	s_mul_hi_i32 s0, s22, 12
	s_add_u32 s1, s1, s12
	s_addc_u32 s0, s0, s13
	s_add_u32 s1, s1, s10
	s_addc_u32 s0, s0, s11
	s_add_u32 s1, s1, 8
	v_writelane_b32 v56, s1, 40
	s_addc_u32 s0, s0, 0
	v_writelane_b32 v56, s0, 41
	s_lshl_b64 s[0:1], s[22:23], 4
	s_add_u32 s0, s0, s12
	s_addc_u32 s1, s1, s13
	s_add_u32 s0, s10, s0
	v_writelane_b32 v56, s0, 42
	s_addc_u32 s0, s11, s1
	v_writelane_b32 v56, s0, 43
	v_writelane_b32 v56, s9, 44
	s_add_u32 s0, s9, 4
	v_writelane_b32 v56, s0, 45
	v_writelane_b32 v56, s19, 46
	s_addc_u32 s0, s19, 0
	v_writelane_b32 v56, s0, 47
	v_writelane_b32 v56, s17, 48
	;; [unrolled: 1-line block ×4, first 2 shown]
	v_cvt_f32_u32_e32 v39, v0
	v_writelane_b32 v56, s28, 51
	v_writelane_b32 v56, s16, 52
	v_mul_hi_u32 v2, v1, v2
	v_writelane_b32 v56, s3, 53
	v_lshlrev_b32_e32 v5, 1, v0
	v_lshl_add_u32 v38, s22, 1, v0
	v_add_u32_e32 v40, v1, v2
	v_mov_b32_e32 v3, 0
	v_add_u32_e32 v41, s22, v0
	v_lshlrev_b32_e32 v4, 2, v0
	s_mov_b32 s23, 0xf800000
	s_mov_b32 s36, 0x4f800000
	v_mov_b32_e32 v42, 0x260
	s_mov_b32 s26, 0x40400000
	s_mov_b32 s27, 0x41200000
	v_writelane_b32 v56, s44, 54
	v_writelane_b32 v56, s45, 55
	s_branch .LBB8_4
.LBB8_2:                                ;   in Loop: Header=BB8_4 Depth=1
	s_or_b64 exec, exec, s[4:5]
	v_readlane_b32 s16, v56, 52
	v_readlane_b32 s17, v56, 48
	;; [unrolled: 1-line block ×6, first 2 shown]
.LBB8_3:                                ;   in Loop: Header=BB8_4 Depth=1
	s_add_i32 s18, s18, 8
	s_cmp_ge_i32 s18, s21
	s_cbranch_scc1 .LBB8_287
.LBB8_4:                                ; =>This Loop Header: Depth=1
                                        ;     Child Loop BB8_14 Depth 2
                                        ;     Child Loop BB8_19 Depth 2
	;; [unrolled: 1-line block ×7, first 2 shown]
                                        ;       Child Loop BB8_44 Depth 3
                                        ;     Child Loop BB8_50 Depth 2
                                        ;       Child Loop BB8_53 Depth 3
                                        ;       Child Loop BB8_57 Depth 3
                                        ;     Child Loop BB8_60 Depth 2
                                        ;     Child Loop BB8_64 Depth 2
                                        ;       Child Loop BB8_70 Depth 3
                                        ;       Child Loop BB8_77 Depth 3
	;; [unrolled: 1-line block ×12, first 2 shown]
                                        ;         Child Loop BB8_193 Depth 4
                                        ;         Child Loop BB8_197 Depth 4
                                        ;       Child Loop BB8_203 Depth 3
                                        ;       Child Loop BB8_221 Depth 3
                                        ;       Child Loop BB8_225 Depth 3
                                        ;       Child Loop BB8_229 Depth 3
                                        ;       Child Loop BB8_250 Depth 3
                                        ;       Child Loop BB8_255 Depth 3
                                        ;         Child Loop BB8_269 Depth 4
                                        ;     Child Loop BB8_280 Depth 2
                                        ;       Child Loop BB8_284 Depth 3
	s_ashr_i32 s19, s18, 31
	s_lshl_b64 s[0:1], s[18:19], 2
	s_add_u32 s0, s17, s0
	s_addc_u32 s1, s20, s1
	s_barrier
	global_load_dwordx2 v[6:7], v3, s[0:1]
	s_mov_b32 s2, s29
	s_waitcnt vmcnt(0)
	v_readfirstlane_b32 s0, v6
	v_readfirstlane_b32 s1, v7
	s_sub_i32 s1, s1, s0
	s_cmp_lt_i32 s1, 3
	s_cbranch_scc1 .LBB8_9
; %bb.5:                                ;   in Loop: Header=BB8_4 Depth=1
	s_cmp_lt_u32 s1, 5
	s_mov_b32 s2, 1
	s_cbranch_scc1 .LBB8_9
; %bb.6:                                ;   in Loop: Header=BB8_4 Depth=1
	s_cmp_lt_u32 s1, 33
	s_mov_b32 s2, 2
	s_cbranch_scc1 .LBB8_9
; %bb.7:                                ;   in Loop: Header=BB8_4 Depth=1
	s_cmpk_lt_u32 s1, 0xe9
	s_mov_b32 s2, 4
	s_cbranch_scc1 .LBB8_9
; %bb.8:                                ;   in Loop: Header=BB8_4 Depth=1
	s_cmpk_lt_u32 s1, 0x128
	s_cselect_b32 s2, 5, 7
	s_cmpk_lt_u32 s1, 0x79b
	s_cselect_b32 s2, s2, 8
.LBB8_9:                                ;   in Loop: Header=BB8_4 Depth=1
	s_add_i32 s1, s2, s3
	s_lshl_b32 s2, 1, s1
	s_cmp_gt_i32 s1, -1
	s_cselect_b32 s1, s2, 0
	s_cmp_ge_i32 s16, s1
	s_cbranch_scc1 .LBB8_3
; %bb.10:                               ;   in Loop: Header=BB8_4 Depth=1
	v_readlane_b32 s2, v56, 14
	v_readlane_b32 s3, v56, 15
	s_ashr_i32 s1, s0, 31
	s_load_dword s6, s[2:3], 0xc
	s_lshl_b64 s[0:1], s[0:1], 2
	v_readlane_b32 s2, v56, 2
	v_readlane_b32 s3, v56, 3
	s_add_u32 s10, s2, s0
	s_addc_u32 s11, s3, s1
	v_readlane_b32 s2, v56, 6
	s_add_u32 s8, s2, s0
	v_readlane_b32 s2, v56, 7
	s_addc_u32 s9, s2, s1
	s_waitcnt lgkmcnt(0)
	s_bfe_u32 s12, s6, 0xf0001
	v_cvt_f32_u32_e32 v1, s12
	v_readlane_b32 s2, v56, 0
	v_readlane_b32 s3, v56, 1
	v_mov_b32_e32 v9, s9
	v_rcp_iflag_f32_e32 v2, v1
	v_mul_f32_e32 v2, v39, v2
	v_trunc_f32_e32 v2, v2
	v_cvt_u32_f32_e32 v6, v2
	v_mad_f32 v2, -v2, v1, v39
	v_cmp_ge_f32_e64 vcc, |v2|, v1
	v_addc_co_u32_e32 v1, vcc, 0, v6, vcc
	v_and_b32_e32 v1, 0x7fff, v1
	v_lshlrev_b32_e32 v8, s2, v1
	v_readlane_b32 s2, v56, 34
	v_add_u32_e32 v6, s2, v8
	v_ashrrev_i32_e32 v7, 31, v6
	v_lshlrev_b64 v[6:7], 2, v[6:7]
	v_add_co_u32_e32 v12, vcc, s8, v6
	v_addc_co_u32_e32 v13, vcc, v9, v7, vcc
	v_mov_b32_e32 v1, s11
	v_add_co_u32_e32 v10, vcc, s10, v6
	v_addc_co_u32_e32 v11, vcc, v1, v7, vcc
	global_load_dword v1, v[12:13], off offset:8
	global_load_dword v2, v[10:11], off offset:8
	v_readlane_b32 s3, v56, 35
	v_readlane_b32 s2, v56, 16
	;; [unrolled: 1-line block ×3, first 2 shown]
	s_andn2_b64 vcc, exec, s[2:3]
	s_cbranch_vccnz .LBB8_22
; %bb.11:                               ;   in Loop: Header=BB8_4 Depth=1
	v_readlane_b32 s2, v56, 25
	v_readlane_b32 s3, v56, 26
	s_and_b64 vcc, exec, s[2:3]
	s_cbranch_vccz .LBB8_16
; %bb.12:                               ;   in Loop: Header=BB8_4 Depth=1
	v_readlane_b32 s2, v56, 22
	v_add_u32_e32 v8, s2, v8
	v_readlane_b32 s2, v56, 21
	v_add_u32_e32 v9, s2, v8
	v_cmp_ge_i32_e32 vcc, v9, v8
	s_mov_b64 s[4:5], -1
	v_mov_b32_e32 v8, 1
	s_and_saveexec_b64 s[2:3], vcc
	s_cbranch_execz .LBB8_17
; %bb.13:                               ;   in Loop: Header=BB8_4 Depth=1
	v_add_co_u32_e32 v8, vcc, 8, v10
	v_addc_co_u32_e32 v9, vcc, 0, v11, vcc
	v_add_co_u32_e32 v8, vcc, 4, v8
	v_addc_co_u32_e32 v9, vcc, 0, v9, vcc
	s_mov_b32 s4, 0
	v_mov_b32_e32 v10, 0
.LBB8_14:                               ;   Parent Loop BB8_4 Depth=1
                                        ; =>  This Inner Loop Header: Depth=2
	s_ashr_i32 s5, s4, 31
	s_lshl_b64 s[14:15], s[4:5], 2
	v_mov_b32_e32 v11, s15
	v_add_co_u32_e32 v12, vcc, s14, v8
	v_addc_co_u32_e32 v13, vcc, v9, v11, vcc
	global_load_dwordx2 v[12:13], v[12:13], off
	s_add_i32 s4, s4, 2
	s_cmp_lg_u32 s28, s4
	s_waitcnt vmcnt(0)
	v_add_u32_e32 v10, v13, v10
	v_add_u32_e32 v2, v12, v2
	s_cbranch_scc1 .LBB8_14
; %bb.15:                               ;   in Loop: Header=BB8_4 Depth=1
	v_readlane_b32 s4, v56, 27
	v_mov_b32_e32 v8, s4
	v_readlane_b32 s4, v56, 28
	v_readlane_b32 s5, v56, 29
	v_add_u32_e32 v2, v2, v10
	s_orn2_b64 s[4:5], s[4:5], exec
	s_or_b64 exec, exec, s[2:3]
	s_and_saveexec_b64 s[2:3], s[4:5]
	s_cbranch_execnz .LBB8_18
	s_branch .LBB8_21
.LBB8_16:                               ;   in Loop: Header=BB8_4 Depth=1
	v_readlane_b32 s4, v56, 23
	v_mov_b32_e32 v8, 1
	v_readlane_b32 s5, v56, 24
	s_and_saveexec_b64 s[2:3], s[4:5]
	s_cbranch_execnz .LBB8_18
	s_branch .LBB8_21
.LBB8_17:                               ;   in Loop: Header=BB8_4 Depth=1
	s_or_b64 exec, exec, s[2:3]
	s_and_saveexec_b64 s[2:3], s[4:5]
	s_cbranch_execz .LBB8_21
.LBB8_18:                               ;   in Loop: Header=BB8_4 Depth=1
	v_mov_b32_e32 v9, s1
	v_add_co_u32_e32 v10, vcc, s0, v6
	v_addc_co_u32_e32 v11, vcc, v7, v9, vcc
	v_ashrrev_i32_e32 v9, 31, v8
	v_lshlrev_b64 v[6:7], 2, v[8:9]
	v_add_co_u32_e32 v6, vcc, v10, v6
	v_readlane_b32 s4, v56, 38
	v_addc_co_u32_e32 v7, vcc, v11, v7, vcc
	v_mov_b32_e32 v9, s4
	v_readlane_b32 s4, v56, 36
	v_add_co_u32_e32 v6, vcc, s4, v6
	v_readlane_b32 s4, v56, 20
	v_addc_co_u32_e32 v7, vcc, v9, v7, vcc
	v_sub_u32_e32 v8, s4, v8
	s_mov_b64 s[4:5], 0
.LBB8_19:                               ;   Parent Loop BB8_4 Depth=1
                                        ; =>  This Inner Loop Header: Depth=2
	global_load_dword v9, v[6:7], off
	v_add_co_u32_e32 v6, vcc, 4, v6
	v_addc_co_u32_e32 v7, vcc, 0, v7, vcc
	v_add_u32_e32 v8, -1, v8
	v_cmp_eq_u32_e32 vcc, 0, v8
	s_or_b64 s[4:5], vcc, s[4:5]
	s_waitcnt vmcnt(0)
	v_add_u32_e32 v2, v9, v2
	s_andn2_b64 exec, exec, s[4:5]
	s_cbranch_execnz .LBB8_19
; %bb.20:                               ;   in Loop: Header=BB8_4 Depth=1
	s_or_b64 exec, exec, s[4:5]
.LBB8_21:                               ;   in Loop: Header=BB8_4 Depth=1
	s_or_b64 exec, exec, s[2:3]
.LBB8_22:                               ;   in Loop: Header=BB8_4 Depth=1
	s_waitcnt vmcnt(0)
	v_add3_u32 v2, v1, v2, -1
	v_cmp_gt_u32_e32 vcc, s12, v0
	v_readlane_b32 s2, v56, 5
	v_cndmask_b32_e32 v6, v1, v2, vcc
	v_cndmask_b32_e64 v2, -4, 0, vcc
	v_mov_b32_e32 v7, s2
	v_readlane_b32 s2, v56, 4
	v_cndmask_b32_e64 v1, -1, 0, vcc
	v_add_co_u32_e32 v2, vcc, s2, v2
	v_addc_co_u32_e32 v1, vcc, v7, v1, vcc
	v_ashrrev_i32_e32 v7, 31, v6
	v_lshlrev_b64 v[6:7], 2, v[6:7]
	s_add_u32 s2, s10, s44
	v_add_co_u32_e32 v6, vcc, v2, v6
	s_addc_u32 s3, s11, s45
	v_addc_co_u32_e32 v7, vcc, v1, v7, vcc
	global_load_dword v1, v3, s[2:3] offset:8
	global_load_dword v12, v[6:7], off
	v_readlane_b32 s4, v56, 18
	s_add_u32 s2, s2, 8
	v_readlane_b32 s5, v56, 19
	s_addc_u32 s3, s3, 0
	s_andn2_b64 vcc, exec, s[4:5]
	s_waitcnt vmcnt(1)
	v_readfirstlane_b32 s19, v1
	s_cbranch_vccnz .LBB8_30
; %bb.23:                               ;   in Loop: Header=BB8_4 Depth=1
	v_readlane_b32 s4, v56, 30
	v_readlane_b32 s5, v56, 31
	s_and_b64 vcc, exec, s[4:5]
	s_cbranch_vccz .LBB8_27
; %bb.24:                               ;   in Loop: Header=BB8_4 Depth=1
	s_add_u32 s4, s2, 4
	s_addc_u32 s5, s3, 0
	s_mov_b32 s2, 0
	s_mov_b32 s10, 0
.LBB8_25:                               ;   Parent Loop BB8_4 Depth=1
                                        ; =>  This Inner Loop Header: Depth=2
	s_ashr_i32 s3, s2, 31
	s_lshl_b64 s[12:13], s[2:3], 2
	s_add_u32 s12, s4, s12
	s_addc_u32 s13, s5, s13
	global_load_dwordx2 v[6:7], v3, s[12:13]
	s_add_i32 s2, s2, 2
	s_waitcnt vmcnt(0)
	v_readfirstlane_b32 s3, v7
	v_readfirstlane_b32 s11, v6
	s_add_i32 s10, s3, s10
	s_add_i32 s19, s11, s19
	s_cmp_lg_u32 s33, s2
	s_cbranch_scc1 .LBB8_25
; %bb.26:                               ;   in Loop: Header=BB8_4 Depth=1
	s_add_i32 s19, s19, s10
	v_readlane_b32 s2, v56, 32
	s_branch .LBB8_28
.LBB8_27:                               ;   in Loop: Header=BB8_4 Depth=1
	s_mov_b32 s2, 1
.LBB8_28:                               ;   in Loop: Header=BB8_4 Depth=1
	s_ashr_i32 s3, s2, 31
	s_lshl_b64 s[4:5], s[2:3], 2
	s_add_u32 s0, s0, s4
	s_addc_u32 s1, s1, s5
	v_readlane_b32 s3, v56, 37
	s_add_u32 s0, s3, s0
	v_readlane_b32 s3, v56, 39
	s_addc_u32 s1, s3, s1
	v_readlane_b32 s3, v56, 33
	s_sub_i32 s2, s3, s2
.LBB8_29:                               ;   Parent Loop BB8_4 Depth=1
                                        ; =>  This Inner Loop Header: Depth=2
	global_load_dword v1, v3, s[0:1]
	s_waitcnt vmcnt(0)
	v_readfirstlane_b32 s3, v1
	s_add_i32 s19, s3, s19
	s_add_u32 s0, s0, 4
	s_addc_u32 s1, s1, 0
	s_add_i32 s2, s2, -1
	s_cmp_eq_u32 s2, 0
	s_cbranch_scc0 .LBB8_29
.LBB8_30:                               ;   in Loop: Header=BB8_4 Depth=1
	s_and_b32 s30, s6, 0xffff
	s_add_u32 s0, s8, s44
	s_addc_u32 s1, s9, s45
	global_load_dword v1, v3, s[0:1] offset:8
	s_mov_b32 s54, 0
	s_waitcnt vmcnt(0)
	v_readfirstlane_b32 s0, v1
	s_ashr_i32 s1, s0, 31
	s_lshl_b64 s[56:57], s[0:1], 2
	v_readlane_b32 s1, v56, 8
	s_add_u32 s1, s1, s56
	v_writelane_b32 v56, s1, 56
	v_readlane_b32 s1, v56, 10
	s_addc_u32 s1, s1, s57
	s_cmp_gt_i32 s19, 0
	s_cselect_b64 s[52:53], -1, 0
	s_cmp_lt_i32 s19, 1
	v_writelane_b32 v56, s1, 57
	s_cbranch_scc1 .LBB8_38
; %bb.31:                               ;   in Loop: Header=BB8_4 Depth=1
	s_cmp_lg_u32 s19, 1
	s_cbranch_scc0 .LBB8_35
; %bb.32:                               ;   in Loop: Header=BB8_4 Depth=1
	s_and_b32 s28, s19, 0x7ffffffe
	v_readlane_b32 s1, v56, 56
	s_add_u32 s2, s1, 8
	v_readlane_b32 s1, v56, 57
	s_addc_u32 s3, s1, 0
	s_mov_b32 s1, 0
	s_mov_b32 s4, s28
	s_mov_b32 s5, 0
.LBB8_33:                               ;   Parent Loop BB8_4 Depth=1
                                        ; =>  This Inner Loop Header: Depth=2
	global_load_dwordx2 v[6:7], v3, s[2:3]
	s_waitcnt vmcnt(0)
	v_readfirstlane_b32 s8, v6
	v_readfirstlane_b32 s6, v7
	s_cmp_eq_u32 s8, 1
	s_cselect_b64 s[8:9], -1, 0
	s_cmp_eq_u32 s6, 1
	s_cselect_b64 s[10:11], -1, 0
	s_cmp_lg_u64 s[10:11], 0
	s_addc_u32 s5, s5, 0
	s_cmp_lg_u64 s[8:9], 0
	s_addc_u32 s1, s1, 0
	s_add_u32 s2, s2, 8
	s_addc_u32 s3, s3, 0
	s_add_i32 s4, s4, -2
	s_cmp_lg_u32 s4, 0
	s_cbranch_scc1 .LBB8_33
; %bb.34:                               ;   in Loop: Header=BB8_4 Depth=1
	s_add_i32 s54, s1, s5
	s_cmp_lg_u32 s19, s28
	s_cselect_b64 s[2:3], -1, 0
	s_and_b64 vcc, exec, s[2:3]
	s_cbranch_vccnz .LBB8_36
	s_branch .LBB8_38
.LBB8_35:                               ;   in Loop: Header=BB8_4 Depth=1
	s_mov_b32 s28, 0
	s_cbranch_execz .LBB8_38
.LBB8_36:                               ;   in Loop: Header=BB8_4 Depth=1
	s_sub_i32 s1, s19, s28
	s_lshl_b64 s[2:3], s[28:29], 2
	s_add_u32 s2, s56, s2
	s_addc_u32 s3, s57, s3
	v_readlane_b32 s4, v56, 40
	s_add_u32 s2, s4, s2
	v_readlane_b32 s4, v56, 41
	s_addc_u32 s3, s4, s3
.LBB8_37:                               ;   Parent Loop BB8_4 Depth=1
                                        ; =>  This Inner Loop Header: Depth=2
	global_load_dword v1, v3, s[2:3]
	s_waitcnt vmcnt(0)
	v_readfirstlane_b32 s4, v1
	s_cmp_eq_u32 s4, 1
	s_cselect_b64 s[4:5], -1, 0
	s_cmp_lg_u64 s[4:5], 0
	s_addc_u32 s54, s54, 0
	s_add_i32 s1, s1, -1
	s_add_u32 s2, s2, 4
	s_addc_u32 s3, s3, 0
	s_cmp_eq_u32 s1, 0
	s_cbranch_scc0 .LBB8_37
.LBB8_38:                               ;   in Loop: Header=BB8_4 Depth=1
	s_mul_i32 s0, s0, s22
	s_ashr_i32 s1, s0, 31
	s_cmp_lt_i32 s54, 1
	s_cselect_b64 s[58:59], -1, 0
	s_and_b64 vcc, exec, s[58:59]
	s_cbranch_vccnz .LBB8_46
; %bb.39:                               ;   in Loop: Header=BB8_4 Depth=1
	s_add_i32 s6, s54, -1
	s_lshl_b32 s14, s30, 1
	v_readlane_b32 s2, v56, 42
	s_add_u32 s15, s2, s56
	v_readlane_b32 s2, v56, 43
	s_addc_u32 s16, s2, s57
	s_lshl_b32 s17, s30, 3
	v_readlane_b32 s2, v56, 45
	s_add_u32 s20, s2, s56
	v_readlane_b32 s2, v56, 47
	s_addc_u32 s21, s2, s57
	s_lshl_b64 s[2:3], s[0:1], 2
	v_readlane_b32 s4, v56, 12
	s_add_u32 s28, s4, s2
	v_readlane_b32 s2, v56, 13
	s_addc_u32 s31, s2, s3
	s_mov_b32 s40, 0
	s_mov_b64 s[2:3], 0
	s_branch .LBB8_41
.LBB8_40:                               ;   in Loop: Header=BB8_41 Depth=2
	s_or_b64 exec, exec, s[4:5]
	s_add_i32 s40, s40, 1
	s_not_b64 s[2:3], s[2:3]
	s_cmp_eq_u32 s40, s54
	s_barrier
	s_cbranch_scc1 .LBB8_46
.LBB8_41:                               ;   Parent Loop BB8_4 Depth=1
                                        ; =>  This Loop Header: Depth=2
                                        ;       Child Loop BB8_44 Depth 3
	v_and_or_b32 v1, s40, 1, v5
	v_cmp_gt_i32_e32 vcc, s6, v1
	s_and_saveexec_b64 s[4:5], vcc
	s_cbranch_execz .LBB8_40
; %bb.42:                               ;   in Loop: Header=BB8_41 Depth=2
	v_cndmask_b32_e64 v2, 0, 1, s[2:3]
	v_add_lshl_u32 v6, v5, v2, 2
	v_mov_b32_e32 v7, s16
	v_add_co_u32_e32 v2, vcc, s15, v6
	v_addc_co_u32_e32 v10, vcc, 0, v7, vcc
	v_mov_b32_e32 v7, s21
	v_add_co_u32_e32 v11, vcc, s20, v6
	v_addc_co_u32_e32 v13, vcc, 0, v7, vcc
	;; [unrolled: 3-line block ×3, first 2 shown]
	s_mov_b64 s[8:9], 0
	s_mov_b64 s[10:11], 0
	s_branch .LBB8_44
.LBB8_43:                               ;   in Loop: Header=BB8_44 Depth=3
	s_or_b64 exec, exec, s[12:13]
	v_add_u32_e32 v1, s14, v1
	s_add_u32 s10, s10, s17
	s_addc_u32 s11, s11, 0
	v_cmp_le_i32_e32 vcc, s6, v1
	s_or_b64 s[8:9], vcc, s[8:9]
	s_andn2_b64 exec, exec, s[8:9]
	s_cbranch_execz .LBB8_40
.LBB8_44:                               ;   Parent Loop BB8_4 Depth=1
                                        ;     Parent Loop BB8_41 Depth=2
                                        ; =>    This Inner Loop Header: Depth=3
	v_mov_b32_e32 v7, s11
	v_add_co_u32_e32 v6, vcc, s10, v14
	v_addc_co_u32_e32 v7, vcc, v15, v7, vcc
	global_load_dwordx2 v[8:9], v[6:7], off
	s_waitcnt vmcnt(0)
	v_cmp_gt_f32_e32 vcc, v8, v9
	s_and_saveexec_b64 s[12:13], vcc
	s_cbranch_execz .LBB8_43
; %bb.45:                               ;   in Loop: Header=BB8_44 Depth=3
	v_mov_b32_e32 v16, v9
	v_mov_b32_e32 v17, v8
	global_store_dwordx2 v[6:7], v[16:17], off
	v_mov_b32_e32 v17, s11
	v_add_co_u32_e32 v6, vcc, s10, v11
	v_addc_co_u32_e32 v7, vcc, v13, v17, vcc
	v_add_co_u32_e32 v16, vcc, s10, v2
	global_load_dwordx2 v[8:9], v[6:7], off offset:-4
	v_addc_co_u32_e32 v17, vcc, v10, v17, vcc
	global_load_dwordx2 v[18:19], v[16:17], off offset:8
	s_waitcnt vmcnt(1)
	v_mov_b32_e32 v20, v9
	v_mov_b32_e32 v21, v8
	s_waitcnt vmcnt(0)
	v_mov_b32_e32 v8, v19
	v_mov_b32_e32 v9, v18
	global_store_dwordx2 v[6:7], v[20:21], off offset:-4
	global_store_dwordx2 v[16:17], v[8:9], off offset:8
	s_branch .LBB8_43
.LBB8_46:                               ;   in Loop: Header=BB8_4 Depth=1
	s_lshl_b64 s[8:9], s[0:1], 2
	v_readlane_b32 s0, v56, 12
	s_add_u32 s31, s0, s8
	v_readlane_b32 s0, v56, 13
	s_addc_u32 s78, s0, s9
	v_cmp_gt_i32_e64 s[0:1], s54, v0
	s_mov_b64 s[4:5], exec
	v_writelane_b32 v56, s0, 58
	v_writelane_b32 v56, s1, 59
	s_and_b64 s[0:1], s[4:5], s[0:1]
	s_mov_b64 exec, s[0:1]
	s_cbranch_execz .LBB8_58
; %bb.47:                               ;   in Loop: Header=BB8_4 Depth=1
	s_mul_i32 s0, s19, s22
	s_cmp_gt_i32 s0, s22
	v_readlane_b32 s1, v56, 12
	s_cselect_b64 s[10:11], -1, 0
	s_add_u32 s1, s1, s8
	v_readlane_b32 s2, v56, 13
	v_add_u32_e32 v1, s0, v0
	s_addc_u32 s6, s2, s9
	s_mov_b32 s20, 0
	s_mov_b64 s[12:13], 0
	v_mov_b32_e32 v13, v41
	v_mov_b32_e32 v2, v0
	s_branch .LBB8_50
.LBB8_48:                               ;   in Loop: Header=BB8_50 Depth=2
	s_or_b64 exec, exec, s[14:15]
.LBB8_49:                               ;   in Loop: Header=BB8_50 Depth=2
	v_add_u32_e32 v2, s30, v2
	s_add_i32 s20, s20, 1
	v_cmp_le_i32_e32 vcc, s54, v2
	s_or_b64 s[12:13], vcc, s[12:13]
	v_add_u32_e32 v13, s30, v13
	s_andn2_b64 exec, exec, s[12:13]
	s_cbranch_execz .LBB8_58
.LBB8_50:                               ;   Parent Loop BB8_4 Depth=1
                                        ; =>  This Loop Header: Depth=2
                                        ;       Child Loop BB8_53 Depth 3
                                        ;       Child Loop BB8_57 Depth 3
	s_andn2_b64 vcc, exec, s[10:11]
	s_cbranch_vccnz .LBB8_49
; %bb.51:                               ;   in Loop: Header=BB8_50 Depth=2
	s_waitcnt vmcnt(0)
	v_lshlrev_b64 v[6:7], 2, v[2:3]
	v_mov_b32_e32 v8, s78
	v_add_co_u32_e32 v6, vcc, s31, v6
	v_addc_co_u32_e32 v7, vcc, v8, v7, vcc
	global_load_dword v6, v[6:7], off
	s_mul_i32 s2, s20, s30
	v_add_u32_e32 v7, s2, v1
	v_add_u32_e32 v8, s2, v38
	v_max_i32_e32 v7, v7, v8
	v_mov_b32_e32 v9, s2
	v_cmp_ne_u32_e32 vcc, v7, v8
	v_addc_co_u32_e64 v8, s[2:3], v38, v9, vcc
	v_sub_u32_e32 v7, v7, v8
	v_mul_hi_u32 v10, v7, v40
	v_mul_lo_u32 v11, v10, s7
	v_sub_u32_e32 v7, v7, v11
	v_cndmask_b32_e64 v9, 1, 2, vcc
	v_add_u32_e32 v11, 1, v10
	v_cmp_le_u32_e32 vcc, s7, v7
	v_cndmask_b32_e32 v10, v10, v11, vcc
	v_subrev_u32_e32 v11, s7, v7
	v_cndmask_b32_e32 v7, v7, v11, vcc
	v_add_u32_e32 v11, 1, v10
	v_cmp_le_u32_e32 vcc, s7, v7
	v_cndmask_b32_e32 v7, v10, v11, vcc
	v_add_u32_e32 v9, v9, v7
	v_cmp_lt_u32_e32 vcc, 1, v9
	v_add_u32_e32 v8, s22, v2
	s_and_b64 s[14:15], vcc, s[48:49]
	s_mov_b64 s[16:17], -1
	s_and_saveexec_b64 s[2:3], s[14:15]
	s_cbranch_execz .LBB8_55
; %bb.52:                               ;   in Loop: Header=BB8_50 Depth=2
	v_and_b32_e32 v14, -2, v9
	s_waitcnt vmcnt(0)
	v_mov_b32_e32 v7, v6
	s_mov_b64 s[14:15], 0
	v_mov_b32_e32 v10, v13
	v_mov_b32_e32 v15, v14
.LBB8_53:                               ;   Parent Loop BB8_4 Depth=1
                                        ;     Parent Loop BB8_50 Depth=2
                                        ; =>    This Inner Loop Header: Depth=3
	v_ashrrev_i32_e32 v11, 31, v10
	v_lshlrev_b64 v[16:17], 2, v[10:11]
	v_mov_b32_e32 v11, s78
	v_add_co_u32_e32 v16, vcc, s31, v16
	v_addc_co_u32_e32 v17, vcc, v11, v17, vcc
	v_add_u32_e32 v15, -2, v15
	v_cmp_eq_u32_e32 vcc, 0, v15
	s_or_b64 s[14:15], vcc, s[14:15]
	v_add_u32_e32 v10, 2, v10
	global_store_dwordx2 v[16:17], v[6:7], off
	s_andn2_b64 exec, exec, s[14:15]
	s_cbranch_execnz .LBB8_53
; %bb.54:                               ;   in Loop: Header=BB8_50 Depth=2
	s_or_b64 exec, exec, s[14:15]
	v_cmp_ne_u32_e32 vcc, v9, v14
	v_add_u32_e32 v8, v8, v14
	s_orn2_b64 s[16:17], vcc, exec
.LBB8_55:                               ;   in Loop: Header=BB8_50 Depth=2
	s_or_b64 exec, exec, s[2:3]
	s_and_saveexec_b64 s[14:15], s[16:17]
	s_cbranch_execz .LBB8_48
; %bb.56:                               ;   in Loop: Header=BB8_50 Depth=2
	v_ashrrev_i32_e32 v9, 31, v8
	v_lshlrev_b64 v[10:11], 2, v[8:9]
	v_mov_b32_e32 v9, s6
	v_add_co_u32_e32 v10, vcc, s1, v10
	v_add_u32_e32 v7, s0, v2
	v_addc_co_u32_e32 v11, vcc, v9, v11, vcc
	s_mov_b64 s[16:17], 0
	s_waitcnt vmcnt(0)
.LBB8_57:                               ;   Parent Loop BB8_4 Depth=1
                                        ;     Parent Loop BB8_50 Depth=2
                                        ; =>    This Inner Loop Header: Depth=3
	v_add_u32_e32 v8, s22, v8
	global_store_dword v[10:11], v6, off
	v_mov_b32_e32 v9, s25
	v_add_co_u32_e32 v10, vcc, s24, v10
	v_cmp_ge_i32_e64 s[2:3], v8, v7
	s_or_b64 s[16:17], s[2:3], s[16:17]
	v_addc_co_u32_e32 v11, vcc, v11, v9, vcc
	s_andn2_b64 exec, exec, s[16:17]
	s_cbranch_execnz .LBB8_57
	s_branch .LBB8_48
.LBB8_58:                               ;   in Loop: Header=BB8_4 Depth=1
	s_or_b64 exec, exec, s[4:5]
	v_cmp_gt_i32_e32 vcc, s19, v0
	s_and_saveexec_b64 s[10:11], vcc
	s_cbranch_execz .LBB8_61
; %bb.59:                               ;   in Loop: Header=BB8_4 Depth=1
	v_mov_b32_e32 v1, s57
	v_add_co_u32_e64 v2, s[2:3], s56, v4
	v_addc_co_u32_e64 v1, s[2:3], 0, v1, s[2:3]
	s_lshl_b32 s0, s30, 2
	s_mov_b64 s[12:13], 0
	s_waitcnt vmcnt(0)
	v_mov_b32_e32 v6, v0
.LBB8_60:                               ;   Parent Loop BB8_4 Depth=1
                                        ; =>  This Inner Loop Header: Depth=2
	v_mov_b32_e32 v7, s39
	v_add_co_u32_e64 v8, s[2:3], s38, v2
	v_addc_co_u32_e64 v9, s[2:3], v7, v1, s[2:3]
	global_load_dword v7, v[8:9], off
	v_mov_b32_e32 v9, s35
	v_mov_b32_e32 v10, s29
	v_add_co_u32_e64 v8, s[2:3], s34, v2
	v_add_co_u32_e64 v2, s[4:5], s0, v2
	v_add_u32_e32 v6, s30, v6
	v_addc_co_u32_e64 v9, s[2:3], v9, v1, s[2:3]
	v_addc_co_u32_e64 v1, s[2:3], v1, v10, s[4:5]
	v_cmp_le_i32_e64 s[2:3], s19, v6
	s_or_b64 s[12:13], s[2:3], s[12:13]
	s_waitcnt vmcnt(0)
	global_store_dword v[8:9], v7, off
	s_andn2_b64 exec, exec, s[12:13]
	s_cbranch_execnz .LBB8_60
.LBB8_61:                               ;   in Loop: Header=BB8_4 Depth=1
	s_or_b64 exec, exec, s[10:11]
	v_readlane_b32 s0, v56, 44
	s_add_u32 s60, s0, s56
	v_readlane_b32 s0, v56, 46
	s_addc_u32 s61, s0, s57
	s_barrier
	s_mov_b64 s[0:1], exec
	v_writelane_b32 v56, s0, 60
	v_writelane_b32 v56, s1, 61
	s_and_b64 s[0:1], s[0:1], vcc
	s_mov_b64 exec, s[0:1]
	s_cbranch_execz .LBB8_275
; %bb.62:                               ;   in Loop: Header=BB8_4 Depth=1
	v_add_f32_e32 v1, v12, v12
	v_cmp_gt_f32_e64 s[2:3], 0, v1
	v_cndmask_b32_e64 v1, v1, -v1, s[2:3]
	v_div_scale_f32 v2, s[0:1], v1, v1, 1.0
	s_add_u32 s79, s34, s56
	s_addc_u32 s0, s35, s57
	s_add_i32 s64, s54, -1
	s_add_i32 s1, s54, -2
	s_ashr_i32 s65, s64, 31
	s_cmp_gt_i32 s54, 2
	s_cselect_b64 s[66:67], -1, 0
	s_ashr_i32 s55, s54, 31
	s_lshl_b64 s[68:69], s[54:55], 2
	s_add_u32 s70, s60, s68
	s_addc_u32 s71, s61, s69
	s_lshl_b64 s[72:73], s[64:65], 2
	s_add_u32 s74, s60, s72
	s_addc_u32 s75, s61, s73
	s_cmp_gt_i32 s54, 1
	s_cselect_b64 s[76:77], -1, 0
	s_cmp_lg_u32 s54, 2
	v_writelane_b32 v56, s1, 62
	s_cselect_b64 s[4:5], -1, 0
	v_writelane_b32 v56, s4, 63
	s_and_b32 s55, s64, -2
	s_waitcnt vmcnt(0)
	v_rcp_f32_e32 v6, v2
	s_cmp_lg_u32 s64, s55
	v_readlane_b32 s1, v56, 56
	s_cselect_b64 s[80:81], -1, 0
	s_add_u32 s65, s1, 8
	v_readlane_b32 s1, v56, 57
                                        ; implicit-def: $vgpr55 : SGPR spill to VGPR lane
	s_addc_u32 s1, s1, 0
	v_writelane_b32 v55, s5, 0
	s_add_u32 s4, s8, s72
	v_fma_f32 v7, -v2, v6, 1.0
	s_addc_u32 s5, s9, s73
	v_readlane_b32 s10, v56, 12
	v_fmac_f32_e32 v6, v7, v6
	v_div_scale_f32 v7, vcc, 1.0, v1, 1.0
	s_add_u32 s62, s10, s4
	v_readlane_b32 s11, v56, 13
	v_mul_f32_e32 v8, v7, v6
	s_addc_u32 s63, s11, s5
	v_fma_f32 v9, -v2, v8, v7
	s_add_u32 s4, s56, s72
	v_fmac_f32_e32 v8, v9, v6
	s_addc_u32 s5, s57, s73
	v_readlane_b32 s6, v56, 44
	v_fma_f32 v2, -v2, v8, v7
	s_add_u32 s20, s6, s4
	v_readlane_b32 s4, v56, 46
	v_div_fmas_f32 v2, v2, v6, v8
	s_addc_u32 s21, s4, s5
	v_div_fixup_f32 v6, v2, v1, 1.0
	s_add_u32 s6, s10, s8
	v_add_f32_e32 v43, v6, v6
	v_mul_f32_e32 v44, 0.5, v1
	v_mov_b32_e32 v9, v6
	s_addc_u32 s50, s11, s9
	s_mov_b64 s[84:85], 0
	v_mov_b32_e32 v10, v0
	s_branch .LBB8_64
.LBB8_63:                               ;   in Loop: Header=BB8_64 Depth=2
	s_or_b64 exec, exec, s[86:87]
	v_add_u32_e32 v10, s30, v10
	v_cmp_le_i32_e32 vcc, s19, v10
	s_or_b64 s[84:85], vcc, s[84:85]
	s_andn2_b64 exec, exec, s[84:85]
	s_cbranch_execz .LBB8_275
.LBB8_64:                               ;   Parent Loop BB8_4 Depth=1
                                        ; =>  This Loop Header: Depth=2
                                        ;       Child Loop BB8_70 Depth 3
                                        ;       Child Loop BB8_77 Depth 3
	;; [unrolled: 1-line block ×12, first 2 shown]
                                        ;         Child Loop BB8_193 Depth 4
                                        ;         Child Loop BB8_197 Depth 4
                                        ;       Child Loop BB8_203 Depth 3
                                        ;       Child Loop BB8_221 Depth 3
	;; [unrolled: 1-line block ×6, first 2 shown]
                                        ;         Child Loop BB8_269 Depth 4
	v_mov_b32_e32 v11, v3
	v_lshlrev_b64 v[12:13], 2, v[10:11]
	v_mov_b32_e32 v2, s1
	v_add_co_u32_e32 v14, vcc, s65, v12
	v_addc_co_u32_e32 v15, vcc, v2, v13, vcc
	global_load_dword v2, v[14:15], off
	s_waitcnt vmcnt(0)
	v_cmp_eq_u32_e32 vcc, 1, v2
	s_and_saveexec_b64 s[86:87], vcc
	s_cbranch_execz .LBB8_63
; %bb.65:                               ;   in Loop: Header=BB8_64 Depth=2
	s_andn2_b64 vcc, exec, s[58:59]
	v_mul_lo_u32 v2, v10, s22
	s_cbranch_vccnz .LBB8_67
; %bb.66:                               ;   in Loop: Header=BB8_64 Depth=2
	v_mul_lo_u32 v28, v10, s22
	s_mov_b64 s[4:5], 0
	s_mov_b32 s8, 0
	s_branch .LBB8_68
.LBB8_67:                               ;   in Loop: Header=BB8_64 Depth=2
	s_mov_b64 s[4:5], -1
                                        ; implicit-def: $sgpr8
                                        ; implicit-def: $vgpr28
.LBB8_68:                               ;   in Loop: Header=BB8_64 Depth=2
	v_mov_b32_e32 v7, s0
	v_add_co_u32_e32 v12, vcc, s79, v12
	v_addc_co_u32_e32 v13, vcc, v7, v13, vcc
	s_andn2_b64 vcc, exec, s[4:5]
	v_mov_b32_e32 v24, s8
	s_cbranch_vccnz .LBB8_72
; %bb.69:                               ;   in Loop: Header=BB8_64 Depth=2
	global_load_dword v7, v[12:13], off
	s_mov_b64 s[8:9], 0
	v_mov_b32_e32 v24, 0
	v_mov_b32_e32 v8, s54
	s_waitcnt vmcnt(0)
	v_cndmask_b32_e64 v7, v7, -v7, s[2:3]
.LBB8_70:                               ;   Parent Loop BB8_4 Depth=1
                                        ;     Parent Loop BB8_64 Depth=2
                                        ; =>    This Inner Loop Header: Depth=3
	v_lshrrev_b32_e32 v11, 1, v8
	v_add_u32_e32 v17, v24, v11
	v_add_u32_e32 v14, v17, v2
	v_ashrrev_i32_e32 v15, 31, v14
	v_lshlrev_b64 v[14:15], 2, v[14:15]
	v_mov_b32_e32 v16, s78
	v_add_co_u32_e32 v14, vcc, s31, v14
	v_addc_co_u32_e32 v15, vcc, v16, v15, vcc
	global_load_dword v14, v[14:15], off
	v_xad_u32 v8, v11, -1, v8
	v_add_u32_e32 v15, 1, v17
	s_waitcnt vmcnt(0)
	v_cmp_lt_f32_e32 vcc, v14, v7
	v_cndmask_b32_e32 v8, v11, v8, vcc
	v_cmp_gt_i32_e64 s[4:5], 1, v8
	s_or_b64 s[8:9], s[4:5], s[8:9]
	v_cndmask_b32_e32 v24, v24, v15, vcc
	s_andn2_b64 exec, exec, s[8:9]
	s_cbranch_execnz .LBB8_70
; %bb.71:                               ;   in Loop: Header=BB8_64 Depth=2
	s_or_b64 exec, exec, s[8:9]
	v_mov_b32_e32 v28, v2
.LBB8_72:                               ;   in Loop: Header=BB8_64 Depth=2
	v_ashrrev_i32_e32 v29, 31, v28
	v_lshlrev_b64 v[20:21], 2, v[28:29]
	v_mov_b32_e32 v2, s78
	v_add_co_u32_e64 v14, s[4:5], s31, v20
	v_cmp_ne_u32_e32 vcc, s64, v24
	v_addc_co_u32_e64 v15, s[4:5], v2, v21, s[4:5]
                                        ; implicit-def: $vgpr7
	s_and_saveexec_b64 s[4:5], vcc
	s_xor_b64 s[88:89], exec, s[4:5]
	s_cbranch_execnz .LBB8_75
; %bb.73:                               ;   in Loop: Header=BB8_64 Depth=2
	s_andn2_saveexec_b64 s[14:15], s[88:89]
	s_cbranch_execnz .LBB8_201
.LBB8_74:                               ;   in Loop: Header=BB8_64 Depth=2
	s_or_b64 exec, exec, s[14:15]
	global_store_dword v[12:13], v7, off
	s_and_b64 exec, exec, s[2:3]
	s_cbranch_execz .LBB8_63
	s_branch .LBB8_274
.LBB8_75:                               ;   in Loop: Header=BB8_64 Depth=2
	v_mov_b32_e32 v25, v3
	v_lshlrev_b64 v[18:19], 2, v[24:25]
	v_add_co_u32_e32 v16, vcc, v14, v18
	v_addc_co_u32_e32 v17, vcc, v15, v19, vcc
	global_load_dwordx2 v[30:31], v[16:17], off
	v_cmp_lt_i32_e32 vcc, 0, v24
	s_waitcnt vmcnt(0)
	v_add_f32_e32 v2, v30, v31
	v_mul_f32_e32 v7, 0.5, v2
	v_mov_b32_e32 v2, 0
	s_and_saveexec_b64 s[4:5], vcc
	s_cbranch_execz .LBB8_79
; %bb.76:                               ;   in Loop: Header=BB8_64 Depth=2
	s_mov_b64 s[8:9], 0
	v_mov_b32_e32 v2, 0
	s_mov_b64 s[10:11], s[60:61]
	v_pk_mov_b32 v[22:23], v[14:15], v[14:15] op_sel:[0,1]
	v_mov_b32_e32 v8, v24
.LBB8_77:                               ;   Parent Loop BB8_4 Depth=1
                                        ;     Parent Loop BB8_64 Depth=2
                                        ; =>    This Inner Loop Header: Depth=3
	global_load_dword v11, v[22:23], off
	global_load_dword v25, v3, s[10:11]
	v_add_co_u32_e32 v22, vcc, 4, v22
	v_add_u32_e32 v8, -1, v8
	s_add_u32 s10, s10, 4
	v_addc_co_u32_e32 v23, vcc, 0, v23, vcc
	s_addc_u32 s11, s11, 0
	v_cmp_eq_u32_e32 vcc, 0, v8
	s_or_b64 s[8:9], vcc, s[8:9]
	s_waitcnt vmcnt(1)
	v_sub_f32_e32 v11, v11, v7
	s_waitcnt vmcnt(0)
	v_div_scale_f32 v26, s[12:13], v11, v11, v25
	v_rcp_f32_e32 v27, v26
	v_div_scale_f32 v32, vcc, v25, v11, v25
	v_fma_f32 v33, -v26, v27, 1.0
	v_fmac_f32_e32 v27, v33, v27
	v_mul_f32_e32 v33, v32, v27
	v_fma_f32 v34, -v26, v33, v32
	v_fmac_f32_e32 v33, v34, v27
	v_fma_f32 v26, -v26, v33, v32
	v_div_fmas_f32 v26, v26, v27, v33
	v_div_fixup_f32 v11, v26, v11, v25
	v_fmac_f32_e32 v2, v25, v11
	s_andn2_b64 exec, exec, s[8:9]
	s_cbranch_execnz .LBB8_77
; %bb.78:                               ;   in Loop: Header=BB8_64 Depth=2
	s_or_b64 exec, exec, s[8:9]
.LBB8_79:                               ;   in Loop: Header=BB8_64 Depth=2
	s_or_b64 exec, exec, s[4:5]
	v_add_u32_e32 v25, 1, v24
	v_cmp_gt_i32_e32 vcc, s64, v25
	v_mov_b32_e32 v11, 0
	s_and_saveexec_b64 s[4:5], vcc
	s_cbranch_execz .LBB8_83
; %bb.80:                               ;   in Loop: Header=BB8_64 Depth=2
	v_lshlrev_b64 v[22:23], 2, v[28:29]
	v_mov_b32_e32 v8, s63
	v_add_co_u32_e32 v22, vcc, s62, v22
	v_addc_co_u32_e32 v23, vcc, v8, v23, vcc
	s_mov_b64 s[8:9], 0
	v_mov_b32_e32 v11, 0
	s_mov_b64 s[10:11], s[20:21]
	s_mov_b32 s12, s64
.LBB8_81:                               ;   Parent Loop BB8_4 Depth=1
                                        ;     Parent Loop BB8_64 Depth=2
                                        ; =>    This Inner Loop Header: Depth=3
	global_load_dword v8, v[22:23], off
	global_load_dword v26, v3, s[10:11]
	s_add_i32 s12, s12, -1
	v_add_co_u32_e32 v22, vcc, -4, v22
	v_addc_co_u32_e32 v23, vcc, -1, v23, vcc
	s_add_u32 s10, s10, -4
	v_cmp_le_i32_e32 vcc, s12, v25
	s_addc_u32 s11, s11, -1
	s_or_b64 s[8:9], vcc, s[8:9]
	s_waitcnt vmcnt(1)
	v_sub_f32_e32 v8, v8, v7
	s_waitcnt vmcnt(0)
	v_div_scale_f32 v27, s[14:15], v8, v8, v26
	v_rcp_f32_e32 v32, v27
	v_div_scale_f32 v33, vcc, v26, v8, v26
	v_fma_f32 v34, -v27, v32, 1.0
	v_fmac_f32_e32 v32, v34, v32
	v_mul_f32_e32 v34, v33, v32
	v_fma_f32 v35, -v27, v34, v33
	v_fmac_f32_e32 v34, v35, v32
	v_fma_f32 v27, -v27, v34, v33
	v_div_fmas_f32 v27, v27, v32, v34
	v_div_fixup_f32 v8, v27, v8, v26
	v_fmac_f32_e32 v11, v26, v8
	s_andn2_b64 exec, exec, s[8:9]
	s_cbranch_execnz .LBB8_81
; %bb.82:                               ;   in Loop: Header=BB8_64 Depth=2
	s_or_b64 exec, exec, s[8:9]
.LBB8_83:                               ;   in Loop: Header=BB8_64 Depth=2
	s_or_b64 exec, exec, s[4:5]
	v_mov_b32_e32 v7, s61
	v_add_co_u32_e32 v18, vcc, s60, v18
	v_addc_co_u32_e32 v19, vcc, v7, v19, vcc
	global_load_dwordx2 v[22:23], v[18:19], off
	v_sub_f32_e32 v8, v31, v30
	v_add_f32_e32 v2, v6, v2
	v_add_f32_e32 v32, v2, v11
                                        ; implicit-def: $vgpr34
                                        ; implicit-def: $sgpr8
	s_waitcnt vmcnt(0)
	v_pk_mul_f32 v[26:27], v[22:23], v[22:23]
	v_sub_f32_e32 v7, v27, v26
	v_add_f32_e32 v7, v7, v7
	v_div_scale_f32 v22, s[4:5], v8, v8, v7
	v_rcp_f32_e32 v23, v22
	v_div_scale_f32 v2, vcc, v7, v8, v7
	v_fma_f32 v11, -v22, v23, 1.0
	v_fmac_f32_e32 v23, v11, v23
	v_mul_f32_e32 v11, v2, v23
	v_fma_f32 v33, -v22, v11, v2
	v_fmac_f32_e32 v11, v33, v23
	v_fma_f32 v2, -v22, v11, v2
	v_div_fmas_f32 v2, v2, v23, v11
	v_div_fixup_f32 v2, v2, v8, v7
	v_add_f32_e32 v2, v32, v2
	v_cmp_lt_f32_e64 s[4:5], 0, v2
	v_cmp_nlt_f32_e64 s[14:15], 0, v2
	v_mul_f32_e32 v23, v8, v32
                                        ; implicit-def: $vgpr7
                                        ; implicit-def: $vgpr11
                                        ; implicit-def: $vgpr33
	s_and_saveexec_b64 s[10:11], s[14:15]
	s_xor_b64 s[10:11], exec, s[10:11]
	s_cbranch_execz .LBB8_89
; %bb.84:                               ;   in Loop: Header=BB8_64 Depth=2
	v_mul_f32_e32 v7, v8, v27
	v_sub_f32_e32 v2, v23, v26
	v_mul_f32_e32 v11, 4.0, v7
	v_sub_f32_e32 v2, v2, v27
	v_mul_f32_e32 v11, v32, v11
	v_fmac_f32_e32 v11, v2, v2
	v_mul_f32_e64 v22, |v11|, s36
	v_cmp_lt_f32_e64 vcc, |v11|, s23
	v_cndmask_b32_e64 v11, |v11|, v22, vcc
	v_sqrt_f32_e32 v22, v11
                                        ; implicit-def: $vgpr34
	v_add_u32_e32 v23, -1, v22
	v_fma_f32 v24, -v23, v22, v11
	v_cmp_ge_f32_e64 s[8:9], 0, v24
	v_add_u32_e32 v24, 1, v22
	v_cndmask_b32_e64 v23, v22, v23, s[8:9]
	v_fma_f32 v22, -v24, v22, v11
	v_cmp_lt_f32_e64 s[8:9], 0, v22
	v_cndmask_b32_e64 v22, v23, v24, s[8:9]
	v_mul_f32_e32 v23, 0x37800000, v22
	v_cndmask_b32_e32 v22, v22, v23, vcc
	v_cmp_class_f32_e32 vcc, v11, v42
	v_cndmask_b32_e32 v11, v22, v11, vcc
	v_cmp_ngt_f32_e32 vcc, 0, v2
	s_and_saveexec_b64 s[8:9], vcc
	s_xor_b64 s[8:9], exec, s[8:9]
	s_cbranch_execz .LBB8_86
; %bb.85:                               ;   in Loop: Header=BB8_64 Depth=2
	v_add_f32_e32 v2, v2, v11
	v_add_f32_e32 v7, v32, v32
	v_div_scale_f32 v11, s[12:13], v7, v7, -v2
	v_rcp_f32_e32 v22, v11
	v_fma_f32 v23, -v11, v22, 1.0
	v_fmac_f32_e32 v22, v23, v22
	v_div_scale_f32 v23, vcc, -v2, v7, -v2
	v_mul_f32_e32 v24, v23, v22
	v_fma_f32 v26, -v11, v24, v23
	v_fmac_f32_e32 v24, v26, v22
	v_fma_f32 v11, -v11, v24, v23
	v_div_fmas_f32 v11, v11, v22, v24
	v_div_fixup_f32 v34, v11, v7, -v2
                                        ; implicit-def: $vgpr7
                                        ; implicit-def: $vgpr2
                                        ; implicit-def: $vgpr11
.LBB8_86:                               ;   in Loop: Header=BB8_64 Depth=2
	s_andn2_saveexec_b64 s[8:9], s[8:9]
	s_cbranch_execz .LBB8_88
; %bb.87:                               ;   in Loop: Header=BB8_64 Depth=2
	v_add_f32_e32 v7, v7, v7
	v_sub_f32_e32 v2, v2, v11
	v_div_scale_f32 v11, s[12:13], v2, v2, v7
	v_rcp_f32_e32 v22, v11
	v_fma_f32 v23, -v11, v22, 1.0
	v_fmac_f32_e32 v22, v23, v22
	v_div_scale_f32 v23, vcc, v7, v2, v7
	v_mul_f32_e32 v24, v23, v22
	v_fma_f32 v26, -v11, v24, v23
	v_fmac_f32_e32 v24, v26, v22
	v_fma_f32 v11, -v11, v24, v23
	v_div_fmas_f32 v11, v11, v22, v24
	v_div_fixup_f32 v34, v11, v2, v7
.LBB8_88:                               ;   in Loop: Header=BB8_64 Depth=2
	s_or_b64 exec, exec, s[8:9]
	v_mul_f32_e32 v11, -0.5, v8
	v_add_f32_e32 v7, v31, v34
	v_add_u32_e32 v33, 1, v25
	s_mov_b32 s8, 0
                                        ; implicit-def: $vgpr23
                                        ; implicit-def: $vgpr26_vgpr27
                                        ; implicit-def: $vgpr32
                                        ; implicit-def: $vgpr24
.LBB8_89:                               ;   in Loop: Header=BB8_64 Depth=2
	s_or_saveexec_b64 s[10:11], s[10:11]
	v_mov_b32_e32 v35, s8
	v_mov_b32_e32 v2, v25
	;; [unrolled: 1-line block ×3, first 2 shown]
	s_xor_b64 exec, exec, s[10:11]
	s_cbranch_execz .LBB8_95
; %bb.90:                               ;   in Loop: Header=BB8_64 Depth=2
	v_add_f32_e32 v2, v23, v26
	v_pk_mul_f32 v[22:23], v[8:9], v[26:27]
	v_add_f32_e32 v2, v2, v27
	v_mul_f32_e32 v7, v2, v2
	v_mul_f32_e32 v11, -4.0, v22
	v_fmac_f32_e32 v7, v32, v11
	v_mul_f32_e64 v11, |v7|, s36
	v_cmp_lt_f32_e64 vcc, |v7|, s23
	v_cndmask_b32_e64 v7, |v7|, v11, vcc
	v_sqrt_f32_e32 v11, v7
                                        ; implicit-def: $vgpr34
	v_add_u32_e32 v23, -1, v11
	v_fma_f32 v26, -v23, v11, v7
	v_cmp_ge_f32_e64 s[8:9], 0, v26
	v_add_u32_e32 v26, 1, v11
	v_cndmask_b32_e64 v23, v11, v23, s[8:9]
	v_fma_f32 v11, -v26, v11, v7
	v_cmp_lt_f32_e64 s[8:9], 0, v11
	v_cndmask_b32_e64 v11, v23, v26, s[8:9]
	v_mul_f32_e32 v23, 0x37800000, v11
	v_cndmask_b32_e32 v11, v11, v23, vcc
	v_cmp_class_f32_e32 vcc, v7, v42
	v_cndmask_b32_e32 v7, v11, v7, vcc
	v_cmp_nlt_f32_e32 vcc, 0, v2
	s_and_saveexec_b64 s[8:9], vcc
	s_xor_b64 s[8:9], exec, s[8:9]
	s_cbranch_execz .LBB8_92
; %bb.91:                               ;   in Loop: Header=BB8_64 Depth=2
	v_sub_f32_e32 v2, v2, v7
	v_add_f32_e32 v7, v32, v32
	v_div_scale_f32 v11, s[12:13], v7, v7, v2
	v_rcp_f32_e32 v22, v11
	v_fma_f32 v23, -v11, v22, 1.0
	v_fmac_f32_e32 v22, v23, v22
	v_div_scale_f32 v23, vcc, v2, v7, v2
	v_mul_f32_e32 v26, v23, v22
	v_fma_f32 v27, -v11, v26, v23
	v_fmac_f32_e32 v26, v27, v22
	v_fma_f32 v11, -v11, v26, v23
	v_div_fmas_f32 v11, v11, v22, v26
	v_div_fixup_f32 v34, v11, v7, v2
                                        ; implicit-def: $vgpr22_vgpr23
                                        ; implicit-def: $vgpr2
                                        ; implicit-def: $vgpr7
.LBB8_92:                               ;   in Loop: Header=BB8_64 Depth=2
	s_andn2_saveexec_b64 s[8:9], s[8:9]
	s_cbranch_execz .LBB8_94
; %bb.93:                               ;   in Loop: Header=BB8_64 Depth=2
	v_add_f32_e32 v11, v22, v22
	v_add_f32_e32 v2, v2, v7
	v_div_scale_f32 v7, s[12:13], v2, v2, v11
	v_rcp_f32_e32 v22, v7
	v_fma_f32 v23, -v7, v22, 1.0
	v_fmac_f32_e32 v22, v23, v22
	v_div_scale_f32 v23, vcc, v11, v2, v11
	v_mul_f32_e32 v26, v23, v22
	v_fma_f32 v27, -v7, v26, v23
	v_fmac_f32_e32 v26, v27, v22
	v_fma_f32 v7, -v7, v26, v23
	v_div_fmas_f32 v7, v7, v22, v26
	v_div_fixup_f32 v34, v7, v2, v11
.LBB8_94:                               ;   in Loop: Header=BB8_64 Depth=2
	s_or_b64 exec, exec, s[8:9]
	v_mul_f32_e32 v35, 0.5, v8
	v_add_f32_e32 v7, v30, v34
	v_mov_b32_e32 v11, 0
	v_mov_b32_e32 v2, v24
	;; [unrolled: 1-line block ×4, first 2 shown]
.LBB8_95:                               ;   in Loop: Header=BB8_64 Depth=2
	s_or_b64 exec, exec, s[10:11]
	v_cmp_lt_u32_e32 vcc, 1, v33
	s_mov_b64 s[10:11], -1
	v_mov_b32_e32 v24, 0
	s_and_saveexec_b64 s[8:9], vcc
	s_cbranch_execz .LBB8_99
; %bb.96:                               ;   in Loop: Header=BB8_64 Depth=2
	v_and_b32_e32 v24, -2, v33
	v_mov_b32_e32 v23, v22
	s_mov_b64 s[10:11], 0
	v_mov_b32_e32 v25, v24
	v_pk_mov_b32 v[26:27], v[14:15], v[14:15] op_sel:[0,1]
.LBB8_97:                               ;   Parent Loop BB8_4 Depth=1
                                        ;     Parent Loop BB8_64 Depth=2
                                        ; =>    This Inner Loop Header: Depth=3
	global_load_dwordx2 v[36:37], v[26:27], off
	v_add_u32_e32 v25, -2, v25
	v_cmp_eq_u32_e32 vcc, 0, v25
	s_or_b64 s[10:11], vcc, s[10:11]
	s_waitcnt vmcnt(0)
	v_pk_add_f32 v[36:37], v[36:37], v[22:23] neg_lo:[0,1] neg_hi:[0,1]
	global_store_dwordx2 v[26:27], v[36:37], off
	v_add_co_u32_e32 v26, vcc, 8, v26
	v_addc_co_u32_e32 v27, vcc, 0, v27, vcc
	s_andn2_b64 exec, exec, s[10:11]
	s_cbranch_execnz .LBB8_97
; %bb.98:                               ;   in Loop: Header=BB8_64 Depth=2
	s_or_b64 exec, exec, s[10:11]
	v_cmp_ne_u32_e32 vcc, v33, v24
	s_orn2_b64 s[10:11], vcc, exec
.LBB8_99:                               ;   in Loop: Header=BB8_64 Depth=2
	s_or_b64 exec, exec, s[8:9]
	s_and_saveexec_b64 s[8:9], s[10:11]
	s_cbranch_execz .LBB8_102
; %bb.100:                              ;   in Loop: Header=BB8_64 Depth=2
	v_mov_b32_e32 v25, v3
	v_sub_u32_e32 v23, v2, v24
	v_lshlrev_b64 v[26:27], 2, v[28:29]
	v_lshlrev_b64 v[24:25], 2, v[24:25]
	v_add_co_u32_e32 v24, vcc, v26, v24
	v_addc_co_u32_e32 v25, vcc, v27, v25, vcc
	v_mov_b32_e32 v26, s50
	v_add_co_u32_e32 v24, vcc, s6, v24
	v_add_u32_e32 v23, 1, v23
	v_addc_co_u32_e32 v25, vcc, v26, v25, vcc
	s_mov_b64 s[10:11], 0
.LBB8_101:                              ;   Parent Loop BB8_4 Depth=1
                                        ;     Parent Loop BB8_64 Depth=2
                                        ; =>    This Inner Loop Header: Depth=3
	global_load_dword v26, v[24:25], off
	v_add_u32_e32 v23, -1, v23
	v_cmp_eq_u32_e32 vcc, 0, v23
	s_or_b64 s[10:11], vcc, s[10:11]
	s_waitcnt vmcnt(0)
	v_sub_f32_e32 v26, v26, v22
	global_store_dword v[24:25], v26, off
	v_add_co_u32_e32 v24, vcc, 4, v24
	v_addc_co_u32_e32 v25, vcc, 0, v25, vcc
	s_andn2_b64 exec, exec, s[10:11]
	s_cbranch_execnz .LBB8_101
.LBB8_102:                              ;   in Loop: Header=BB8_64 Depth=2
	s_or_b64 exec, exec, s[8:9]
	v_cmp_le_i32_e64 s[12:13], s64, v2
	v_cmp_gt_i32_e64 s[8:9], s64, v2
	s_and_saveexec_b64 s[10:11], s[8:9]
	s_cbranch_execz .LBB8_112
; %bb.103:                              ;   in Loop: Header=BB8_64 Depth=2
	v_xad_u32 v25, v2, -1, s54
	v_cmp_lt_u32_e32 vcc, 1, v25
	s_mov_b64 s[40:41], -1
	v_mov_b32_e32 v24, s64
	v_pk_mov_b32 v[26:27], s[72:73], s[72:73] op_sel:[0,1]
	s_and_saveexec_b64 s[16:17], vcc
	s_cbranch_execz .LBB8_109
; %bb.104:                              ;   in Loop: Header=BB8_64 Depth=2
	v_and_b32_e32 v32, -2, v25
	v_add_co_u32_e32 v24, vcc, -4, v14
	v_mov_b32_e32 v23, v22
	v_addc_co_u32_e32 v26, vcc, -1, v15, vcc
	s_mov_b64 s[40:41], 0
	s_mov_b32 s42, s64
	v_mov_b32_e32 v27, v32
.LBB8_105:                              ;   Parent Loop BB8_4 Depth=1
                                        ;     Parent Loop BB8_64 Depth=2
                                        ; =>    This Inner Loop Header: Depth=3
	s_ashr_i32 s43, s42, 31
	s_lshl_b64 s[44:45], s[42:43], 2
	v_mov_b32_e32 v33, s45
	v_add_co_u32_e32 v36, vcc, s44, v24
	v_addc_co_u32_e32 v37, vcc, v26, v33, vcc
	global_load_dwordx2 v[46:47], v[36:37], off
	v_add_u32_e32 v27, -2, v27
	s_add_i32 s42, s42, -2
	v_cmp_eq_u32_e32 vcc, 0, v27
	s_or_b64 s[40:41], vcc, s[40:41]
	s_waitcnt vmcnt(0)
	v_pk_add_f32 v[46:47], v[46:47], v[22:23] neg_lo:[0,1] neg_hi:[0,1]
	global_store_dwordx2 v[36:37], v[46:47], off
	s_andn2_b64 exec, exec, s[40:41]
	s_cbranch_execnz .LBB8_105
; %bb.106:                              ;   in Loop: Header=BB8_64 Depth=2
	s_or_b64 exec, exec, s[40:41]
	v_cmp_ne_u32_e32 vcc, v25, v32
	s_mov_b64 s[40:41], 0
                                        ; implicit-def: $vgpr24
                                        ; implicit-def: $vgpr26_vgpr27
	s_and_saveexec_b64 s[42:43], vcc
	s_xor_b64 s[42:43], exec, s[42:43]
; %bb.107:                              ;   in Loop: Header=BB8_64 Depth=2
	v_sub_u32_e32 v24, s64, v32
	v_ashrrev_i32_e32 v25, 31, v24
	s_mov_b64 s[40:41], exec
	v_lshlrev_b64 v[26:27], 2, v[24:25]
; %bb.108:                              ;   in Loop: Header=BB8_64 Depth=2
	s_or_b64 exec, exec, s[42:43]
	s_orn2_b64 s[40:41], s[40:41], exec
.LBB8_109:                              ;   in Loop: Header=BB8_64 Depth=2
	s_or_b64 exec, exec, s[16:17]
	s_and_b64 exec, exec, s[40:41]
	s_cbranch_execz .LBB8_112
; %bb.110:                              ;   in Loop: Header=BB8_64 Depth=2
	v_lshlrev_b64 v[32:33], 2, v[28:29]
	v_add_co_u32_e32 v23, vcc, v32, v26
	v_addc_co_u32_e32 v25, vcc, v33, v27, vcc
	v_mov_b32_e32 v27, s50
	v_add_co_u32_e32 v26, vcc, s6, v23
	v_addc_co_u32_e32 v27, vcc, v27, v25, vcc
	s_mov_b64 s[16:17], 0
.LBB8_111:                              ;   Parent Loop BB8_4 Depth=1
                                        ;     Parent Loop BB8_64 Depth=2
                                        ; =>    This Inner Loop Header: Depth=3
	global_load_dword v23, v[26:27], off
	v_add_u32_e32 v24, -1, v24
	v_cmp_le_i32_e32 vcc, v24, v2
	s_or_b64 s[16:17], vcc, s[16:17]
	s_waitcnt vmcnt(0)
	v_sub_f32_e32 v23, v23, v22
	global_store_dword v[26:27], v23, off
	v_add_co_u32_e32 v26, vcc, -4, v26
	v_addc_co_u32_e32 v27, vcc, -1, v27, vcc
	s_andn2_b64 exec, exec, s[16:17]
	s_cbranch_execnz .LBB8_111
.LBB8_112:                              ;   in Loop: Header=BB8_64 Depth=2
	s_or_b64 exec, exec, s[10:11]
	v_lshlrev_b64 v[26:27], 2, v[2:3]
	v_add_co_u32_e32 v24, vcc, v14, v26
	v_addc_co_u32_e32 v25, vcc, v15, v27, vcc
	global_load_dword v23, v[24:25], off
	v_cmp_lt_i32_e64 s[10:11], 0, v2
	v_mov_b32_e32 v36, 0
	v_mov_b32_e32 v37, 0
	s_waitcnt vmcnt(0)
	v_sub_f32_e32 v23, v23, v34
	global_store_dword v[24:25], v23, off
	v_mov_b32_e32 v23, 0
	s_and_saveexec_b64 s[40:41], s[10:11]
	s_cbranch_execz .LBB8_116
; %bb.113:                              ;   in Loop: Header=BB8_64 Depth=2
	s_mov_b64 s[42:43], 0
	v_mov_b32_e32 v36, 0
	s_mov_b64 s[44:45], s[60:61]
	v_pk_mov_b32 v[32:33], v[14:15], v[14:15] op_sel:[0,1]
	v_mov_b32_e32 v45, v2
	v_mov_b32_e32 v37, 0
	;; [unrolled: 1-line block ×3, first 2 shown]
.LBB8_114:                              ;   Parent Loop BB8_4 Depth=1
                                        ;     Parent Loop BB8_64 Depth=2
                                        ; =>    This Inner Loop Header: Depth=3
	global_load_dword v46, v[32:33], off
	v_add_u32_e32 v45, -1, v45
	v_cmp_eq_u32_e32 vcc, 0, v45
	s_waitcnt vmcnt(0)
	v_sub_f32_e32 v46, v46, v34
	global_store_dword v[32:33], v46, off
	global_load_dword v47, v3, s[44:45]
	v_add_co_u32_e64 v32, s[16:17], 4, v32
	v_addc_co_u32_e64 v33, s[16:17], 0, v33, s[16:17]
	s_add_u32 s44, s44, 4
	s_addc_u32 s45, s45, 0
	s_or_b64 s[42:43], vcc, s[42:43]
	s_waitcnt vmcnt(0)
	v_div_scale_f32 v48, s[16:17], v46, v46, v47
	v_rcp_f32_e32 v49, v48
	v_div_scale_f32 v50, vcc, v47, v46, v47
	v_fma_f32 v51, -v48, v49, 1.0
	v_fmac_f32_e32 v49, v51, v49
	v_mul_f32_e32 v51, v50, v49
	v_fma_f32 v52, -v48, v51, v50
	v_fmac_f32_e32 v51, v52, v49
	v_fma_f32 v48, -v48, v51, v50
	v_div_fmas_f32 v48, v48, v49, v51
	v_div_fixup_f32 v46, v48, v46, v47
	v_fmac_f32_e32 v23, v47, v46
	v_fmac_f32_e32 v36, v46, v46
	v_add_f32_e32 v37, v37, v23
	s_andn2_b64 exec, exec, s[42:43]
	s_cbranch_execnz .LBB8_114
; %bb.115:                              ;   in Loop: Header=BB8_64 Depth=2
	s_or_b64 exec, exec, s[42:43]
.LBB8_116:                              ;   in Loop: Header=BB8_64 Depth=2
	s_or_b64 exec, exec, s[40:41]
	v_and_b32_e32 v46, 0x7fffffff, v37
	v_mov_b32_e32 v45, 0
	v_mov_b32_e32 v47, 0
	s_and_saveexec_b64 s[40:41], s[8:9]
	s_cbranch_execz .LBB8_120
; %bb.117:                              ;   in Loop: Header=BB8_64 Depth=2
	v_lshlrev_b64 v[32:33], 2, v[28:29]
	v_mov_b32_e32 v37, s63
	v_add_co_u32_e32 v32, vcc, s62, v32
	v_addc_co_u32_e32 v33, vcc, v37, v33, vcc
	s_mov_b64 s[42:43], 0
	v_mov_b32_e32 v45, 0
	s_mov_b64 s[44:45], s[20:21]
	s_mov_b32 s28, s64
	v_mov_b32_e32 v47, 0
.LBB8_118:                              ;   Parent Loop BB8_4 Depth=1
                                        ;     Parent Loop BB8_64 Depth=2
                                        ; =>    This Inner Loop Header: Depth=3
	global_load_dword v37, v[32:33], off
	s_add_i32 s28, s28, -1
	v_cmp_le_i32_e32 vcc, s28, v2
	s_waitcnt vmcnt(0)
	v_sub_f32_e32 v37, v37, v34
	global_store_dword v[32:33], v37, off
	global_load_dword v48, v3, s[44:45]
	v_add_co_u32_e64 v32, s[16:17], -4, v32
	v_addc_co_u32_e64 v33, s[16:17], -1, v33, s[16:17]
	s_add_u32 s44, s44, -4
	s_addc_u32 s45, s45, -1
	s_or_b64 s[42:43], vcc, s[42:43]
	s_waitcnt vmcnt(0)
	v_div_scale_f32 v49, s[16:17], v37, v37, v48
	v_rcp_f32_e32 v50, v49
	v_div_scale_f32 v51, vcc, v48, v37, v48
	v_fma_f32 v52, -v49, v50, 1.0
	v_fmac_f32_e32 v50, v52, v50
	v_mul_f32_e32 v52, v51, v50
	v_fma_f32 v53, -v49, v52, v51
	v_fmac_f32_e32 v52, v53, v50
	v_fma_f32 v49, -v49, v52, v51
	v_div_fmas_f32 v49, v49, v50, v52
	v_div_fixup_f32 v37, v49, v37, v48
	v_fmac_f32_e32 v47, v48, v37
	v_fmac_f32_e32 v45, v37, v37
	v_add_f32_e32 v46, v46, v47
	s_andn2_b64 exec, exec, s[42:43]
	s_cbranch_execnz .LBB8_118
; %bb.119:                              ;   in Loop: Header=BB8_64 Depth=2
	s_or_b64 exec, exec, s[42:43]
.LBB8_120:                              ;   in Loop: Header=BB8_64 Depth=2
	s_or_b64 exec, exec, s[40:41]
	v_mov_b32_e32 v32, s61
	v_add_co_u32_e32 v26, vcc, s60, v26
	v_addc_co_u32_e32 v27, vcc, v32, v27, vcc
	global_load_dword v37, v[24:25], off
	global_load_dword v32, v[26:27], off
	v_add_f32_e32 v33, v6, v23
	v_sub_f32_e32 v48, v47, v23
	v_add_f32_e32 v45, v36, v45
	v_add_f32_e32 v36, v33, v47
	v_mov_b32_e32 v49, v43
	v_fmac_f32_e32 v49, 0x41000000, v48
	s_waitcnt vmcnt(0)
	v_div_scale_f32 v23, s[16:17], v37, v37, v32
	v_rcp_f32_e32 v50, v23
	v_div_scale_f32 v33, vcc, v32, v37, v32
	v_fma_f32 v47, -v23, v50, 1.0
	v_fmac_f32_e32 v50, v47, v50
	v_mul_f32_e32 v47, v33, v50
	v_fma_f32 v51, -v23, v47, v33
	v_fmac_f32_e32 v47, v51, v50
	v_fma_f32 v23, -v23, v47, v33
	v_div_fmas_f32 v23, v23, v50, v47
	v_div_fixup_f32 v33, v23, v37, v32
	v_mul_f32_e32 v47, v32, v33
	v_fma_f32 v23, v33, v33, v45
	v_fmac_f32_e32 v36, v32, v33
	v_fma_f32 v32, |v47|, s26, v49
	v_fma_f32 v32, |v34|, v23, v32
	v_add_f32_e32 v32, v46, v32
	v_mul_f32_e32 v32, s37, v32
	v_cmp_nle_f32_e64 s[16:17], |v36|, v32
	s_and_saveexec_b64 s[90:91], s[16:17]
	s_cbranch_execz .LBB8_200
; %bb.121:                              ;   in Loop: Header=BB8_64 Depth=2
	v_cndmask_b32_e64 v7, 4, 0, s[4:5]
	v_add_co_u32_e32 v46, vcc, v18, v7
	v_addc_co_u32_e32 v47, vcc, 0, v19, vcc
	global_load_dword v46, v[46:47], off
	v_sub_f32_e32 v7, v30, v31
	global_load_dwordx2 v[32:33], v[16:17], off
	v_cndmask_b32_e64 v30, v8, v7, s[4:5]
	s_waitcnt vmcnt(1)
	v_mul_f32_e32 v30, v30, v46
	v_mul_f32_e32 v30, v46, v30
	s_waitcnt vmcnt(0)
	v_cndmask_b32_e64 v31, v33, v32, s[4:5]
	v_div_scale_f32 v46, s[16:17], v31, v31, v30
	v_rcp_f32_e32 v50, v46
	v_div_scale_f32 v52, vcc, v30, v31, v30
	v_mul_f32_e32 v49, v32, v33
	v_fma_f32 v53, -v46, v50, 1.0
	v_fmac_f32_e32 v50, v53, v50
	v_mul_f32_e32 v53, v52, v50
	v_fma_f32 v54, -v46, v53, v52
	v_fmac_f32_e32 v53, v54, v50
	v_fma_f32 v46, -v46, v53, v52
	v_div_fmas_f32 v46, v46, v50, v53
	v_div_fixup_f32 v46, v46, v31, v30
	v_div_scale_f32 v50, s[16:17], v31, v31, v46
	v_rcp_f32_e32 v52, v50
	v_add_f32_e32 v48, v32, v33
	v_mul_f32_e32 v51, v23, v49
	v_fma_f32 v30, v36, v48, -v51
	v_fma_f32 v51, -v50, v52, 1.0
	v_div_scale_f32 v48, vcc, v46, v31, v46
	v_fmac_f32_e32 v52, v51, v52
	v_mul_f32_e32 v51, v48, v52
	v_fma_f32 v53, -v50, v51, v48
	v_fmac_f32_e32 v51, v53, v52
	v_fma_f32 v48, -v50, v51, v48
	v_cndmask_b32_e64 v47, v32, v33, s[4:5]
	v_div_fmas_f32 v48, v48, v52, v51
	v_fma_f32 v47, -v23, v47, v36
	v_div_fixup_f32 v31, v48, v31, v46
	v_sub_f32_e32 v47, v47, v31
	v_mul_f32_e32 v46, v36, v49
	v_cmp_neq_f32_e32 vcc, 0, v47
                                        ; implicit-def: $vgpr31
	s_and_saveexec_b64 s[16:17], vcc
	s_xor_b64 s[40:41], exec, s[16:17]
	s_cbranch_execz .LBB8_127
; %bb.122:                              ;   in Loop: Header=BB8_64 Depth=2
	v_mul_f32_e32 v31, -4.0, v46
	v_mul_f32_e32 v31, v31, v47
	v_fmac_f32_e32 v31, v30, v30
	v_mul_f32_e64 v32, |v31|, s36
	v_cmp_lt_f32_e64 vcc, |v31|, s23
	v_cndmask_b32_e64 v31, |v31|, v32, vcc
	v_sqrt_f32_e32 v32, v31
	v_add_u32_e32 v33, -1, v32
	v_add_u32_e32 v45, 1, v32
	v_fma_f32 v48, -v33, v32, v31
	v_fma_f32 v49, -v45, v32, v31
	v_cmp_ge_f32_e64 s[16:17], 0, v48
	v_cndmask_b32_e64 v32, v32, v33, s[16:17]
	v_cmp_lt_f32_e64 s[16:17], 0, v49
	v_cndmask_b32_e64 v32, v32, v45, s[16:17]
	v_mul_f32_e32 v33, 0x37800000, v32
	v_cndmask_b32_e32 v32, v32, v33, vcc
	v_cmp_class_f32_e32 vcc, v31, v42
	v_cndmask_b32_e32 v32, v32, v31, vcc
	v_cmp_ge_f32_e32 vcc, 0, v30
                                        ; implicit-def: $vgpr31
	s_and_saveexec_b64 s[16:17], vcc
	s_xor_b64 s[16:17], exec, s[16:17]
	s_cbranch_execz .LBB8_124
; %bb.123:                              ;   in Loop: Header=BB8_64 Depth=2
	v_sub_f32_e32 v30, v30, v32
	v_add_f32_e32 v31, v47, v47
	v_div_scale_f32 v32, s[42:43], v31, v31, v30
	v_rcp_f32_e32 v33, v32
	v_fma_f32 v45, -v32, v33, 1.0
	v_fmac_f32_e32 v33, v45, v33
	v_div_scale_f32 v45, vcc, v30, v31, v30
	v_mul_f32_e32 v46, v45, v33
	v_fma_f32 v47, -v32, v46, v45
	v_fmac_f32_e32 v46, v47, v33
	v_fma_f32 v32, -v32, v46, v45
	v_div_fmas_f32 v32, v32, v33, v46
	v_div_fixup_f32 v31, v32, v31, v30
                                        ; implicit-def: $vgpr46
                                        ; implicit-def: $vgpr30
                                        ; implicit-def: $vgpr32
.LBB8_124:                              ;   in Loop: Header=BB8_64 Depth=2
	s_andn2_saveexec_b64 s[16:17], s[16:17]
	s_cbranch_execz .LBB8_126
; %bb.125:                              ;   in Loop: Header=BB8_64 Depth=2
	v_add_f32_e32 v31, v46, v46
	v_add_f32_e32 v30, v30, v32
	v_div_scale_f32 v32, s[42:43], v30, v30, v31
	v_rcp_f32_e32 v33, v32
	v_fma_f32 v45, -v32, v33, 1.0
	v_fmac_f32_e32 v33, v45, v33
	v_div_scale_f32 v45, vcc, v31, v30, v31
	v_mul_f32_e32 v46, v45, v33
	v_fma_f32 v47, -v32, v46, v45
	v_fmac_f32_e32 v46, v47, v33
	v_fma_f32 v32, -v32, v46, v45
	v_div_fmas_f32 v32, v32, v33, v46
	v_div_fixup_f32 v31, v32, v30, v31
.LBB8_126:                              ;   in Loop: Header=BB8_64 Depth=2
	s_or_b64 exec, exec, s[16:17]
                                        ; implicit-def: $vgpr30
                                        ; implicit-def: $vgpr46
                                        ; implicit-def: $vgpr32_vgpr33
                                        ; implicit-def: $vgpr45
.LBB8_127:                              ;   in Loop: Header=BB8_64 Depth=2
	s_andn2_saveexec_b64 s[16:17], s[40:41]
	s_cbranch_execz .LBB8_135
; %bb.128:                              ;   in Loop: Header=BB8_64 Depth=2
	v_cmp_eq_f32_e32 vcc, 0, v30
	s_and_saveexec_b64 s[40:41], vcc
	s_cbranch_execz .LBB8_134
; %bb.129:                              ;   in Loop: Header=BB8_64 Depth=2
                                        ; implicit-def: $vgpr30
	s_and_saveexec_b64 s[42:43], s[14:15]
	s_xor_b64 s[42:43], exec, s[42:43]
	s_cbranch_execz .LBB8_131
; %bb.130:                              ;   in Loop: Header=BB8_64 Depth=2
	global_load_dword v30, v[18:19], off offset:4
	v_mul_f32_e32 v31, v32, v32
                                        ; implicit-def: $vgpr32_vgpr33
	s_waitcnt vmcnt(0)
	v_mul_f32_e32 v30, v30, v30
	v_fmac_f32_e32 v30, v45, v31
                                        ; implicit-def: $vgpr45
.LBB8_131:                              ;   in Loop: Header=BB8_64 Depth=2
	s_andn2_saveexec_b64 s[42:43], s[42:43]
	s_cbranch_execz .LBB8_133
; %bb.132:                              ;   in Loop: Header=BB8_64 Depth=2
	global_load_dword v30, v[18:19], off
	v_mul_f32_e32 v31, v33, v33
	s_waitcnt vmcnt(0)
	v_mul_f32_e32 v30, v30, v30
	v_fmac_f32_e32 v30, v45, v31
.LBB8_133:                              ;   in Loop: Header=BB8_64 Depth=2
	s_or_b64 exec, exec, s[42:43]
.LBB8_134:                              ;   in Loop: Header=BB8_64 Depth=2
	s_or_b64 exec, exec, s[40:41]
	v_div_scale_f32 v31, s[40:41], v30, v30, v46
	v_rcp_f32_e32 v32, v31
	v_div_scale_f32 v33, vcc, v46, v30, v46
	v_fma_f32 v45, -v31, v32, 1.0
	v_fmac_f32_e32 v32, v45, v32
	v_mul_f32_e32 v45, v33, v32
	v_fma_f32 v47, -v31, v45, v33
	v_fmac_f32_e32 v45, v47, v32
	v_fma_f32 v31, -v31, v45, v33
	v_div_fmas_f32 v31, v31, v32, v45
	v_div_fixup_f32 v31, v31, v30, v46
.LBB8_135:                              ;   in Loop: Header=BB8_64 Depth=2
	s_or_b64 exec, exec, s[16:17]
	v_mul_f32_e32 v30, v36, v31
	v_cmp_le_f32_e32 vcc, 0, v30
	s_and_saveexec_b64 s[16:17], vcc
; %bb.136:                              ;   in Loop: Header=BB8_64 Depth=2
	v_div_scale_f32 v30, s[40:41], v23, v23, -v36
	v_rcp_f32_e32 v31, v30
	v_div_scale_f32 v32, vcc, -v36, v23, -v36
	v_fma_f32 v33, -v30, v31, 1.0
	v_fmac_f32_e32 v31, v33, v31
	v_mul_f32_e32 v33, v32, v31
	v_fma_f32 v45, -v30, v33, v32
	v_fmac_f32_e32 v33, v45, v31
	v_fma_f32 v30, -v30, v33, v32
	v_div_fmas_f32 v30, v30, v31, v33
	v_div_fixup_f32 v31, v30, v23, -v36
; %bb.137:                              ;   in Loop: Header=BB8_64 Depth=2
	s_or_b64 exec, exec, s[16:17]
	v_cmp_lt_f32_e32 vcc, v11, v34
	v_cndmask_b32_e32 v23, v11, v34, vcc
	v_cmp_nge_f32_e32 vcc, 0, v36
	v_cndmask_b32_e32 v11, v23, v11, vcc
	v_cmp_lt_f32_e32 vcc, 0, v36
	v_cmp_lt_f32_e64 s[16:17], v34, v35
	s_and_b64 vcc, vcc, s[16:17]
	v_cndmask_b32_e32 v23, v35, v34, vcc
	v_add_f32_e32 v30, v34, v31
	v_cmp_gt_f32_e32 vcc, v30, v23
	v_cmp_lt_f32_e64 s[16:17], v30, v11
	s_or_b64 s[40:41], vcc, s[16:17]
	s_and_saveexec_b64 s[16:17], s[40:41]
	s_cbranch_execz .LBB8_143
; %bb.138:                              ;   in Loop: Header=BB8_64 Depth=2
	v_cmp_ngt_f32_e32 vcc, 0, v36
                                        ; implicit-def: $vgpr31
	s_and_saveexec_b64 s[40:41], vcc
	s_xor_b64 s[40:41], exec, s[40:41]
; %bb.139:                              ;   in Loop: Header=BB8_64 Depth=2
	v_sub_f32_e32 v30, v11, v34
	v_mul_f32_e32 v31, 0.5, v30
; %bb.140:                              ;   in Loop: Header=BB8_64 Depth=2
	s_andn2_saveexec_b64 s[40:41], s[40:41]
; %bb.141:                              ;   in Loop: Header=BB8_64 Depth=2
	v_sub_f32_e32 v30, v23, v34
	v_mul_f32_e32 v31, 0.5, v30
; %bb.142:                              ;   in Loop: Header=BB8_64 Depth=2
	s_or_b64 exec, exec, s[40:41]
.LBB8_143:                              ;   in Loop: Header=BB8_64 Depth=2
	s_or_b64 exec, exec, s[16:17]
	v_sub_f32_e32 v30, v37, v31
	global_store_dword v[24:25], v30, off
	v_mov_b32_e32 v30, 0
	v_mov_b32_e32 v35, 0
	;; [unrolled: 1-line block ×3, first 2 shown]
	s_and_saveexec_b64 s[40:41], s[10:11]
	s_cbranch_execz .LBB8_147
; %bb.144:                              ;   in Loop: Header=BB8_64 Depth=2
	s_mov_b64 s[42:43], 0
	v_mov_b32_e32 v30, 0
	s_mov_b64 s[44:45], s[60:61]
	v_pk_mov_b32 v[32:33], v[14:15], v[14:15] op_sel:[0,1]
	v_mov_b32_e32 v45, v2
	v_mov_b32_e32 v35, 0
	;; [unrolled: 1-line block ×3, first 2 shown]
.LBB8_145:                              ;   Parent Loop BB8_4 Depth=1
                                        ;     Parent Loop BB8_64 Depth=2
                                        ; =>    This Inner Loop Header: Depth=3
	global_load_dword v46, v[32:33], off
	v_add_u32_e32 v45, -1, v45
	v_cmp_eq_u32_e32 vcc, 0, v45
	s_waitcnt vmcnt(0)
	v_sub_f32_e32 v46, v46, v31
	global_store_dword v[32:33], v46, off
	global_load_dword v47, v3, s[44:45]
	v_add_co_u32_e64 v32, s[16:17], 4, v32
	v_addc_co_u32_e64 v33, s[16:17], 0, v33, s[16:17]
	s_add_u32 s44, s44, 4
	s_addc_u32 s45, s45, 0
	s_or_b64 s[42:43], vcc, s[42:43]
	s_waitcnt vmcnt(0)
	v_div_scale_f32 v48, s[16:17], v46, v46, v47
	v_rcp_f32_e32 v49, v48
	v_div_scale_f32 v50, vcc, v47, v46, v47
	v_fma_f32 v51, -v48, v49, 1.0
	v_fmac_f32_e32 v49, v51, v49
	v_mul_f32_e32 v51, v50, v49
	v_fma_f32 v52, -v48, v51, v50
	v_fmac_f32_e32 v51, v52, v49
	v_fma_f32 v48, -v48, v51, v50
	v_div_fmas_f32 v48, v48, v49, v51
	v_div_fixup_f32 v46, v48, v46, v47
	v_fmac_f32_e32 v37, v47, v46
	v_fmac_f32_e32 v30, v46, v46
	v_add_f32_e32 v35, v35, v37
	s_andn2_b64 exec, exec, s[42:43]
	s_cbranch_execnz .LBB8_145
; %bb.146:                              ;   in Loop: Header=BB8_64 Depth=2
	s_or_b64 exec, exec, s[42:43]
.LBB8_147:                              ;   in Loop: Header=BB8_64 Depth=2
	s_or_b64 exec, exec, s[40:41]
	v_and_b32_e32 v47, 0x7fffffff, v35
                                        ; implicit-def: $sgpr28
	s_and_saveexec_b64 s[16:17], s[12:13]
	s_xor_b64 s[12:13], exec, s[16:17]
; %bb.148:                              ;   in Loop: Header=BB8_64 Depth=2
	v_lshlrev_b64 v[20:21], 2, v[28:29]
	s_mov_b32 s28, 0
; %bb.149:                              ;   in Loop: Header=BB8_64 Depth=2
	s_or_saveexec_b64 s[16:17], s[12:13]
	v_mov_b32_e32 v33, s28
	v_mov_b32_e32 v32, s28
	s_xor_b64 exec, exec, s[16:17]
	s_cbranch_execz .LBB8_153
; %bb.150:                              ;   in Loop: Header=BB8_64 Depth=2
	v_mov_b32_e32 v29, s63
	v_add_co_u32_e32 v28, vcc, s62, v20
	v_mov_b32_e32 v32, 0
	v_addc_co_u32_e32 v29, vcc, v29, v21, vcc
	s_mov_b64 s[40:41], 0
	s_mov_b64 s[42:43], s[20:21]
	s_mov_b32 s28, s64
	v_mov_b32_e32 v33, v32
.LBB8_151:                              ;   Parent Loop BB8_4 Depth=1
                                        ;     Parent Loop BB8_64 Depth=2
                                        ; =>    This Inner Loop Header: Depth=3
	global_load_dword v35, v[28:29], off
	s_add_i32 s28, s28, -1
	v_cmp_le_i32_e32 vcc, s28, v2
	s_waitcnt vmcnt(0)
	v_sub_f32_e32 v35, v35, v31
	global_store_dword v[28:29], v35, off
	global_load_dword v49, v3, s[42:43]
	v_add_co_u32_e64 v28, s[12:13], -4, v28
	v_addc_co_u32_e64 v29, s[12:13], -1, v29, s[12:13]
	s_add_u32 s42, s42, -4
	s_addc_u32 s43, s43, -1
	s_or_b64 s[40:41], vcc, s[40:41]
	s_waitcnt vmcnt(0)
	v_div_scale_f32 v45, s[12:13], v35, v35, v49
	v_rcp_f32_e32 v46, v45
	v_div_scale_f32 v48, vcc, v49, v35, v49
	v_fma_f32 v50, -v45, v46, 1.0
	v_fmac_f32_e32 v46, v50, v46
	v_mul_f32_e32 v50, v48, v46
	v_fma_f32 v51, -v45, v50, v48
	v_fmac_f32_e32 v50, v51, v46
	v_fma_f32 v45, -v45, v50, v48
	v_div_fmas_f32 v45, v45, v46, v50
	v_div_fixup_f32 v48, v45, v35, v49
	v_pk_fma_f32 v[32:33], v[48:49], v[48:49], v[32:33] op_sel_hi:[1,0,1]
	v_add_f32_e32 v47, v47, v33
	s_andn2_b64 exec, exec, s[40:41]
	s_cbranch_execnz .LBB8_151
; %bb.152:                              ;   in Loop: Header=BB8_64 Depth=2
	s_or_b64 exec, exec, s[40:41]
.LBB8_153:                              ;   in Loop: Header=BB8_64 Depth=2
	s_or_b64 exec, exec, s[16:17]
	global_load_dword v35, v[26:27], off
	global_load_dword v46, v[24:25], off
	v_add_f32_e32 v45, v34, v31
	v_add_f32_e32 v31, v6, v37
	v_and_b32_e32 v48, 0x7fffffff, v36
	v_pk_add_f32 v[28:29], v[30:31], v[32:33]
	v_div_scale_f32 v31, s[12:13], s27, s27, v48
	v_sub_f32_e32 v34, v33, v37
	v_div_scale_f32 v33, s[12:13], v48, s27, v48
	v_rcp_f32_e32 v48, v31
	v_mov_b32_e32 v37, v43
	v_fmac_f32_e32 v37, 0x41000000, v34
	v_mov_b32_e32 v49, s63
	v_fma_f32 v34, -v31, v48, 1.0
	v_add_co_u32_e32 v20, vcc, s62, v20
	v_fmac_f32_e32 v48, v34, v48
	v_addc_co_u32_e32 v21, vcc, v49, v21, vcc
	v_mul_f32_e32 v49, v33, v48
	v_fma_f32 v34, -v31, v49, v33
	v_fmac_f32_e32 v49, v34, v48
	v_fma_f32 v31, -v31, v49, v33
	s_mov_b32 s28, 1
                                        ; implicit-def: $sgpr92_sgpr93
                                        ; implicit-def: $sgpr94_sgpr95
	s_waitcnt vmcnt(0)
	v_div_scale_f32 v34, s[16:17], v46, v46, v35
	v_rcp_f32_e32 v50, v34
	v_div_scale_f32 v33, vcc, v35, v46, v35
	s_mov_b64 s[16:17], 0
	v_fma_f32 v51, -v34, v50, 1.0
	v_fmac_f32_e32 v50, v51, v50
	v_mul_f32_e32 v51, v33, v50
	v_fma_f32 v52, -v34, v51, v33
	v_fmac_f32_e32 v51, v52, v50
	v_fma_f32 v33, -v34, v51, v33
	v_div_fmas_f32 v33, v33, v50, v51
	v_div_fixup_f32 v34, v33, v46, v35
	s_mov_b64 vcc, s[12:13]
	v_div_fmas_f32 v31, v31, v48, v49
	v_pk_mul_f32 v[48:49], v[34:35], v[34:35] op_sel_hi:[1,0]
	v_pk_fma_f32 v[28:29], v[34:35], v[34:35], v[28:29] op_sel_hi:[1,0,1]
	v_fma_f32 v33, |v49|, s26, v37
	v_div_fixup_f32 v31, v31, s27, |v36|
	v_cndmask_b32_e64 v35, v29, -v29, s[4:5]
	v_fma_f32 v33, |v45|, v28, v33
	v_cmp_gt_f32_e64 s[44:45], v35, v31
	v_add_f32_e32 v31, v47, v33
	s_branch .LBB8_156
.LBB8_154:                              ;   in Loop: Header=BB8_156 Depth=3
	s_or_b64 exec, exec, s[42:43]
	global_load_dword v35, v[26:27], off
	global_load_dword v46, v[24:25], off
	v_add_f32_e32 v45, v45, v31
	v_add_f32_e32 v31, v6, v28
	v_and_b32_e32 v34, 0x7fffffff, v29
	v_pk_add_f32 v[48:49], v[30:31], v[32:33]
	v_div_scale_f32 v31, s[12:13], s27, s27, v34
	v_sub_f32_e32 v28, v33, v28
	v_rcp_f32_e32 v33, v31
	v_mov_b32_e32 v37, v43
	v_fmac_f32_e32 v37, 0x41000000, v28
	v_div_scale_f32 v28, s[12:13], v34, s27, v34
	v_fma_f32 v34, -v31, v33, 1.0
	v_fmac_f32_e32 v33, v34, v33
	v_mul_f32_e32 v47, v28, v33
	v_fma_f32 v34, -v31, v47, v28
	v_fmac_f32_e32 v47, v34, v33
	v_fma_f32 v28, -v31, v47, v28
	s_add_i32 s28, s28, 1
	s_waitcnt vmcnt(0)
	v_div_scale_f32 v34, s[42:43], v46, v46, v35
	v_rcp_f32_e32 v50, v34
	v_div_scale_f32 v31, vcc, v35, v46, v35
	v_fma_f32 v51, -v34, v50, 1.0
	v_fmac_f32_e32 v50, v51, v50
	v_mul_f32_e32 v51, v31, v50
	v_fma_f32 v52, -v34, v51, v31
	v_fmac_f32_e32 v51, v52, v50
	v_fma_f32 v31, -v34, v51, v31
	v_div_fmas_f32 v31, v31, v50, v51
	v_div_fixup_f32 v34, v31, v46, v35
	s_mov_b64 vcc, s[12:13]
	v_div_fmas_f32 v28, v28, v33, v47
	v_pk_fma_f32 v[48:49], v[34:35], v[34:35], v[48:49] op_sel_hi:[1,0,1]
	v_div_fixup_f32 v28, v28, s27, |v29|
	v_mul_f32_e32 v29, v29, v49
	v_cmp_gt_f32_e64 s[12:13], |v49|, v28
	v_cmp_lt_f32_e32 vcc, 0, v29
	s_and_b64 s[12:13], vcc, s[12:13]
	s_xor_b64 s[12:13], s[44:45], s[12:13]
	v_pk_mul_f32 v[50:51], v[34:35], v[34:35] op_sel_hi:[1,0]
	s_cmp_eq_u32 s28, 50
	v_fma_f32 v31, |v51|, s26, v37
	s_cselect_b64 s[42:43], -1, 0
	s_andn2_b64 s[46:47], s[94:95], exec
	s_and_b64 s[12:13], s[12:13], exec
	v_fma_f32 v28, |v45|, v48, v31
	s_andn2_b64 s[82:83], s[92:93], exec
	s_or_b64 s[94:95], s[46:47], s[12:13]
	s_and_b64 s[12:13], s[42:43], exec
	v_add_f32_e32 v31, v36, v28
	s_or_b64 s[92:93], s[82:83], s[12:13]
	v_pk_mov_b32 v[28:29], v[48:49], v[48:49] op_sel:[0,1]
                                        ; implicit-def: $sgpr44_sgpr45
.LBB8_155:                              ;   in Loop: Header=BB8_156 Depth=3
	s_or_b64 exec, exec, s[40:41]
	s_and_b64 s[12:13], exec, s[92:93]
	s_or_b64 s[16:17], s[12:13], s[16:17]
	s_andn2_b64 s[12:13], s[44:45], exec
	s_and_b64 s[40:41], s[94:95], exec
	s_or_b64 s[44:45], s[12:13], s[40:41]
	s_andn2_b64 exec, exec, s[16:17]
	s_cbranch_execz .LBB8_199
.LBB8_156:                              ;   Parent Loop BB8_4 Depth=1
                                        ;     Parent Loop BB8_64 Depth=2
                                        ; =>    This Loop Header: Depth=3
                                        ;         Child Loop BB8_193 Depth 4
                                        ;         Child Loop BB8_197 Depth 4
	v_mul_f32_e32 v31, s37, v31
	v_cmp_nle_f32_e64 s[12:13], |v29|, v31
	s_andn2_b64 s[94:95], s[94:95], exec
	s_or_b64 s[92:93], s[92:93], exec
                                        ; implicit-def: $vgpr31
	s_and_saveexec_b64 s[40:41], s[12:13]
	s_cbranch_execz .LBB8_155
; %bb.157:                              ;   in Loop: Header=BB8_156 Depth=3
	global_load_dwordx2 v[36:37], v[16:17], off
	s_xor_b64 s[42:43], s[44:45], -1
                                        ; implicit-def: $vgpr35
	s_and_saveexec_b64 s[12:13], s[42:43]
	s_xor_b64 s[12:13], exec, s[12:13]
	s_cbranch_execz .LBB8_159
; %bb.158:                              ;   in Loop: Header=BB8_156 Depth=3
	v_fma_f32 v31, v34, v34, v30
	v_fma_f32 v33, v34, v34, v32
	v_cndmask_b32_e64 v30, v30, v31, s[4:5]
	v_cndmask_b32_e64 v32, v33, v32, s[4:5]
	s_waitcnt vmcnt(0)
	v_fma_f32 v31, -v30, v36, v29
	v_fma_f32 v35, -v32, v37, v31
.LBB8_159:                              ;   in Loop: Header=BB8_156 Depth=3
	s_andn2_saveexec_b64 s[12:13], s[12:13]
	s_cbranch_execz .LBB8_165
; %bb.160:                              ;   in Loop: Header=BB8_156 Depth=3
                                        ; implicit-def: $vgpr35
	s_and_saveexec_b64 s[46:47], s[14:15]
	s_xor_b64 s[46:47], exec, s[46:47]
	s_cbranch_execz .LBB8_162
; %bb.161:                              ;   in Loop: Header=BB8_156 Depth=3
	global_load_dword v31, v[18:19], off offset:4
	s_waitcnt vmcnt(0)
	v_mul_f32_e32 v33, v8, v31
	v_mul_f32_e32 v31, v31, v33
	v_div_scale_f32 v33, s[82:83], v37, v37, v31
	v_rcp_f32_e32 v34, v33
	v_div_scale_f32 v35, vcc, v31, v37, v31
	v_fma_f32 v47, -v33, v34, 1.0
	v_fmac_f32_e32 v34, v47, v34
	v_mul_f32_e32 v47, v35, v34
	v_fma_f32 v48, -v33, v47, v35
	v_fmac_f32_e32 v47, v48, v34
	v_fma_f32 v33, -v33, v47, v35
	v_div_fmas_f32 v33, v33, v34, v47
	v_div_fixup_f32 v31, v33, v37, v31
	v_div_scale_f32 v33, s[82:83], v37, v37, v31
	v_rcp_f32_e32 v34, v33
	v_div_scale_f32 v47, vcc, v31, v37, v31
	v_fma_f32 v35, -v28, v36, v29
	v_fma_f32 v48, -v33, v34, 1.0
	v_fmac_f32_e32 v34, v48, v34
	v_mul_f32_e32 v48, v47, v34
	v_fma_f32 v49, -v33, v48, v47
	v_fmac_f32_e32 v48, v49, v34
	v_fma_f32 v33, -v33, v48, v47
	v_div_fmas_f32 v33, v33, v34, v48
	v_div_fixup_f32 v31, v33, v37, v31
	v_sub_f32_e32 v35, v35, v31
.LBB8_162:                              ;   in Loop: Header=BB8_156 Depth=3
	s_andn2_saveexec_b64 s[46:47], s[46:47]
	s_cbranch_execz .LBB8_164
; %bb.163:                              ;   in Loop: Header=BB8_156 Depth=3
	global_load_dword v31, v[18:19], off
	s_waitcnt vmcnt(0)
	v_mul_f32_e32 v33, v7, v31
	v_mul_f32_e32 v31, v31, v33
	v_div_scale_f32 v33, s[82:83], v36, v36, v31
	v_rcp_f32_e32 v34, v33
	v_div_scale_f32 v35, vcc, v31, v36, v31
	v_fma_f32 v47, -v33, v34, 1.0
	v_fmac_f32_e32 v34, v47, v34
	v_mul_f32_e32 v47, v35, v34
	v_fma_f32 v48, -v33, v47, v35
	v_fmac_f32_e32 v47, v48, v34
	v_fma_f32 v33, -v33, v47, v35
	v_div_fmas_f32 v33, v33, v34, v47
	v_div_fixup_f32 v31, v33, v36, v31
	v_div_scale_f32 v33, s[82:83], v36, v36, v31
	v_rcp_f32_e32 v34, v33
	v_div_scale_f32 v47, vcc, v31, v36, v31
	v_fma_f32 v35, -v28, v37, v29
	v_fma_f32 v48, -v33, v34, 1.0
	v_fmac_f32_e32 v34, v48, v34
	v_mul_f32_e32 v48, v47, v34
	v_fma_f32 v49, -v33, v48, v47
	v_fmac_f32_e32 v48, v49, v34
	v_fma_f32 v33, -v33, v48, v47
	v_div_fmas_f32 v33, v33, v34, v48
	v_div_fixup_f32 v31, v33, v36, v31
	v_sub_f32_e32 v35, v35, v31
.LBB8_164:                              ;   in Loop: Header=BB8_156 Depth=3
	s_or_b64 exec, exec, s[46:47]
.LBB8_165:                              ;   in Loop: Header=BB8_156 Depth=3
	s_or_b64 exec, exec, s[12:13]
	s_waitcnt vmcnt(0)
	v_mul_f32_e32 v33, v36, v37
	v_add_f32_e32 v31, v36, v37
	v_mul_f32_e32 v34, v28, v33
	v_fma_f32 v34, v29, v31, -v34
	v_mul_f32_e32 v33, v29, v33
	v_cmp_neq_f32_e32 vcc, 0, v35
                                        ; implicit-def: $vgpr31
	s_and_saveexec_b64 s[12:13], vcc
	s_xor_b64 s[46:47], exec, s[12:13]
	s_cbranch_execz .LBB8_171
; %bb.166:                              ;   in Loop: Header=BB8_156 Depth=3
	v_mul_f32_e32 v30, -4.0, v33
	v_mul_f32_e32 v30, v30, v35
	v_fmac_f32_e32 v30, v34, v34
	v_mul_f32_e64 v31, |v30|, s36
	v_cmp_lt_f32_e64 vcc, |v30|, s23
	v_cndmask_b32_e64 v30, |v30|, v31, vcc
	v_sqrt_f32_e32 v31, v30
	v_add_u32_e32 v32, -1, v31
	v_add_u32_e32 v36, 1, v31
	v_fma_f32 v37, -v32, v31, v30
	v_fma_f32 v47, -v36, v31, v30
	v_cmp_ge_f32_e64 s[12:13], 0, v37
	v_cndmask_b32_e64 v31, v31, v32, s[12:13]
	v_cmp_lt_f32_e64 s[12:13], 0, v47
	v_cndmask_b32_e64 v31, v31, v36, s[12:13]
	v_mul_f32_e32 v32, 0x37800000, v31
	v_cndmask_b32_e32 v31, v31, v32, vcc
	v_cmp_class_f32_e32 vcc, v30, v42
	v_cndmask_b32_e32 v30, v31, v30, vcc
	v_cmp_ge_f32_e32 vcc, 0, v34
                                        ; implicit-def: $vgpr31
	s_and_saveexec_b64 s[12:13], vcc
	s_xor_b64 s[12:13], exec, s[12:13]
	s_cbranch_execz .LBB8_168
; %bb.167:                              ;   in Loop: Header=BB8_156 Depth=3
	v_sub_f32_e32 v30, v34, v30
	v_add_f32_e32 v31, v35, v35
	v_div_scale_f32 v32, s[82:83], v31, v31, v30
	v_rcp_f32_e32 v33, v32
	v_fma_f32 v34, -v32, v33, 1.0
	v_fmac_f32_e32 v33, v34, v33
	v_div_scale_f32 v34, vcc, v30, v31, v30
	v_mul_f32_e32 v35, v34, v33
	v_fma_f32 v36, -v32, v35, v34
	v_fmac_f32_e32 v35, v36, v33
	v_fma_f32 v32, -v32, v35, v34
	v_div_fmas_f32 v32, v32, v33, v35
	v_div_fixup_f32 v31, v32, v31, v30
                                        ; implicit-def: $vgpr33
                                        ; implicit-def: $vgpr34
                                        ; implicit-def: $vgpr30
.LBB8_168:                              ;   in Loop: Header=BB8_156 Depth=3
	s_andn2_saveexec_b64 s[12:13], s[12:13]
	s_cbranch_execz .LBB8_170
; %bb.169:                              ;   in Loop: Header=BB8_156 Depth=3
	v_add_f32_e32 v31, v33, v33
	v_add_f32_e32 v30, v34, v30
	v_div_scale_f32 v32, s[82:83], v30, v30, v31
	v_rcp_f32_e32 v33, v32
	v_fma_f32 v34, -v32, v33, 1.0
	v_fmac_f32_e32 v33, v34, v33
	v_div_scale_f32 v34, vcc, v31, v30, v31
	v_mul_f32_e32 v35, v34, v33
	v_fma_f32 v36, -v32, v35, v34
	v_fmac_f32_e32 v35, v36, v33
	v_fma_f32 v32, -v32, v35, v34
	v_div_fmas_f32 v32, v32, v33, v35
	v_div_fixup_f32 v31, v32, v30, v31
.LBB8_170:                              ;   in Loop: Header=BB8_156 Depth=3
	s_or_b64 exec, exec, s[12:13]
                                        ; implicit-def: $vgpr34
                                        ; implicit-def: $vgpr33
                                        ; implicit-def: $vgpr36_vgpr37
                                        ; implicit-def: $vgpr32
                                        ; implicit-def: $vgpr30
.LBB8_171:                              ;   in Loop: Header=BB8_156 Depth=3
	s_andn2_saveexec_b64 s[12:13], s[46:47]
	s_cbranch_execz .LBB8_183
; %bb.172:                              ;   in Loop: Header=BB8_156 Depth=3
	v_cmp_eq_f32_e32 vcc, 0, v34
	s_and_saveexec_b64 s[46:47], vcc
	s_cbranch_execz .LBB8_182
; %bb.173:                              ;   in Loop: Header=BB8_156 Depth=3
                                        ; implicit-def: $vgpr34
	s_and_saveexec_b64 s[82:83], s[42:43]
	s_xor_b64 s[42:43], exec, s[82:83]
; %bb.174:                              ;   in Loop: Header=BB8_156 Depth=3
	v_mul_f32_e32 v34, v37, v37
	v_mul_f32_e32 v31, v36, v36
	;; [unrolled: 1-line block ×3, first 2 shown]
	v_fmac_f32_e32 v34, v31, v30
                                        ; implicit-def: $vgpr36_vgpr37
                                        ; implicit-def: $vgpr30
                                        ; implicit-def: $vgpr32
; %bb.175:                              ;   in Loop: Header=BB8_156 Depth=3
	s_andn2_saveexec_b64 s[42:43], s[42:43]
	s_cbranch_execz .LBB8_181
; %bb.176:                              ;   in Loop: Header=BB8_156 Depth=3
	v_add_f32_e32 v30, v30, v32
                                        ; implicit-def: $vgpr34
	s_and_saveexec_b64 s[82:83], s[14:15]
	s_xor_b64 s[82:83], exec, s[82:83]
	s_cbranch_execz .LBB8_178
; %bb.177:                              ;   in Loop: Header=BB8_156 Depth=3
	global_load_dword v31, v[18:19], off offset:4
	s_waitcnt vmcnt(0)
	v_mul_f32_e32 v34, v31, v31
	v_mul_f32_e32 v31, v36, v36
	v_fmac_f32_e32 v34, v31, v30
                                        ; implicit-def: $vgpr36_vgpr37
                                        ; implicit-def: $vgpr30
.LBB8_178:                              ;   in Loop: Header=BB8_156 Depth=3
	s_andn2_saveexec_b64 s[82:83], s[82:83]
	s_cbranch_execz .LBB8_180
; %bb.179:                              ;   in Loop: Header=BB8_156 Depth=3
	global_load_dword v31, v[18:19], off
	s_waitcnt vmcnt(0)
	v_mul_f32_e32 v34, v31, v31
	v_mul_f32_e32 v31, v37, v37
	v_fmac_f32_e32 v34, v31, v30
.LBB8_180:                              ;   in Loop: Header=BB8_156 Depth=3
	s_or_b64 exec, exec, s[82:83]
.LBB8_181:                              ;   in Loop: Header=BB8_156 Depth=3
	s_or_b64 exec, exec, s[42:43]
.LBB8_182:                              ;   in Loop: Header=BB8_156 Depth=3
	s_or_b64 exec, exec, s[46:47]
	v_div_scale_f32 v30, s[42:43], v34, v34, v33
	v_rcp_f32_e32 v31, v30
	v_div_scale_f32 v32, vcc, v33, v34, v33
	v_fma_f32 v35, -v30, v31, 1.0
	v_fmac_f32_e32 v31, v35, v31
	v_mul_f32_e32 v35, v32, v31
	v_fma_f32 v36, -v30, v35, v32
	v_fmac_f32_e32 v35, v36, v31
	v_fma_f32 v30, -v30, v35, v32
	v_div_fmas_f32 v30, v30, v31, v35
	v_div_fixup_f32 v31, v30, v34, v33
.LBB8_183:                              ;   in Loop: Header=BB8_156 Depth=3
	s_or_b64 exec, exec, s[12:13]
	v_mul_f32_e32 v30, v29, v31
	v_cmp_le_f32_e32 vcc, 0, v30
	s_and_saveexec_b64 s[12:13], vcc
; %bb.184:                              ;   in Loop: Header=BB8_156 Depth=3
	v_div_scale_f32 v30, s[42:43], v28, v28, -v29
	v_rcp_f32_e32 v31, v30
	v_div_scale_f32 v32, vcc, -v29, v28, -v29
	v_fma_f32 v33, -v30, v31, 1.0
	v_fmac_f32_e32 v31, v33, v31
	v_mul_f32_e32 v33, v32, v31
	v_fma_f32 v34, -v30, v33, v32
	v_fmac_f32_e32 v33, v34, v31
	v_fma_f32 v30, -v30, v33, v32
	v_div_fmas_f32 v30, v30, v31, v33
	v_div_fixup_f32 v31, v30, v28, -v29
; %bb.185:                              ;   in Loop: Header=BB8_156 Depth=3
	s_or_b64 exec, exec, s[12:13]
	v_cmp_lt_f32_e32 vcc, v11, v45
	v_cndmask_b32_e32 v28, v11, v45, vcc
	v_cmp_nge_f32_e32 vcc, 0, v29
	v_cndmask_b32_e32 v11, v28, v11, vcc
	v_cmp_lt_f32_e32 vcc, 0, v29
	v_cmp_lt_f32_e64 s[12:13], v45, v23
	s_and_b64 vcc, vcc, s[12:13]
	v_cndmask_b32_e32 v23, v23, v45, vcc
	v_add_f32_e32 v28, v45, v31
	v_cmp_gt_f32_e32 vcc, v28, v23
	v_cmp_lt_f32_e64 s[12:13], v28, v11
	s_or_b64 s[42:43], vcc, s[12:13]
	s_and_saveexec_b64 s[12:13], s[42:43]
	s_cbranch_execz .LBB8_191
; %bb.186:                              ;   in Loop: Header=BB8_156 Depth=3
	v_cmp_ngt_f32_e32 vcc, 0, v29
                                        ; implicit-def: $vgpr31
	s_and_saveexec_b64 s[42:43], vcc
	s_xor_b64 s[42:43], exec, s[42:43]
; %bb.187:                              ;   in Loop: Header=BB8_156 Depth=3
	v_sub_f32_e32 v28, v11, v45
	v_mul_f32_e32 v31, 0.5, v28
; %bb.188:                              ;   in Loop: Header=BB8_156 Depth=3
	s_andn2_saveexec_b64 s[42:43], s[42:43]
; %bb.189:                              ;   in Loop: Header=BB8_156 Depth=3
	v_sub_f32_e32 v28, v23, v45
	v_mul_f32_e32 v31, 0.5, v28
; %bb.190:                              ;   in Loop: Header=BB8_156 Depth=3
	s_or_b64 exec, exec, s[42:43]
.LBB8_191:                              ;   in Loop: Header=BB8_156 Depth=3
	s_or_b64 exec, exec, s[12:13]
	v_sub_f32_e32 v28, v46, v31
	global_store_dword v[24:25], v28, off
	v_mov_b32_e32 v30, 0
	v_mov_b32_e32 v34, 0
	v_mov_b32_e32 v28, 0
	s_and_saveexec_b64 s[42:43], s[10:11]
	s_cbranch_execz .LBB8_195
; %bb.192:                              ;   in Loop: Header=BB8_156 Depth=3
	s_mov_b64 s[46:47], 0
	v_mov_b32_e32 v30, 0
	s_mov_b64 s[82:83], s[60:61]
	v_pk_mov_b32 v[32:33], v[14:15], v[14:15] op_sel:[0,1]
	v_mov_b32_e32 v35, v2
	v_mov_b32_e32 v34, 0
	;; [unrolled: 1-line block ×3, first 2 shown]
.LBB8_193:                              ;   Parent Loop BB8_4 Depth=1
                                        ;     Parent Loop BB8_64 Depth=2
                                        ;       Parent Loop BB8_156 Depth=3
                                        ; =>      This Inner Loop Header: Depth=4
	global_load_dword v36, v[32:33], off
	v_add_u32_e32 v35, -1, v35
	v_cmp_eq_u32_e32 vcc, 0, v35
	s_waitcnt vmcnt(0)
	v_sub_f32_e32 v36, v36, v31
	global_store_dword v[32:33], v36, off
	global_load_dword v37, v3, s[82:83]
	v_add_co_u32_e64 v32, s[12:13], 4, v32
	v_addc_co_u32_e64 v33, s[12:13], 0, v33, s[12:13]
	s_add_u32 s82, s82, 4
	s_addc_u32 s83, s83, 0
	s_or_b64 s[46:47], vcc, s[46:47]
	s_waitcnt vmcnt(0)
	v_div_scale_f32 v46, s[12:13], v36, v36, v37
	v_rcp_f32_e32 v47, v46
	v_div_scale_f32 v48, vcc, v37, v36, v37
	v_fma_f32 v49, -v46, v47, 1.0
	v_fmac_f32_e32 v47, v49, v47
	v_mul_f32_e32 v49, v48, v47
	v_fma_f32 v50, -v46, v49, v48
	v_fmac_f32_e32 v49, v50, v47
	v_fma_f32 v46, -v46, v49, v48
	v_div_fmas_f32 v46, v46, v47, v49
	v_div_fixup_f32 v36, v46, v36, v37
	v_fmac_f32_e32 v28, v37, v36
	v_fmac_f32_e32 v30, v36, v36
	v_add_f32_e32 v34, v34, v28
	s_andn2_b64 exec, exec, s[46:47]
	s_cbranch_execnz .LBB8_193
; %bb.194:                              ;   in Loop: Header=BB8_156 Depth=3
	s_or_b64 exec, exec, s[46:47]
.LBB8_195:                              ;   in Loop: Header=BB8_156 Depth=3
	s_or_b64 exec, exec, s[42:43]
	v_mov_b32_e32 v33, 0
	v_and_b32_e32 v36, 0x7fffffff, v34
	v_mov_b32_e32 v32, v33
	s_and_saveexec_b64 s[42:43], s[8:9]
	s_cbranch_execz .LBB8_154
; %bb.196:                              ;   in Loop: Header=BB8_156 Depth=3
	v_mov_b32_e32 v32, 0
	s_mov_b64 s[46:47], 0
	s_mov_b64 s[82:83], s[20:21]
	v_pk_mov_b32 v[34:35], v[20:21], v[20:21] op_sel:[0,1]
	s_mov_b32 s51, s64
	v_mov_b32_e32 v33, v32
.LBB8_197:                              ;   Parent Loop BB8_4 Depth=1
                                        ;     Parent Loop BB8_64 Depth=2
                                        ;       Parent Loop BB8_156 Depth=3
                                        ; =>      This Inner Loop Header: Depth=4
	global_load_dword v37, v[34:35], off
	s_add_i32 s51, s51, -1
	v_cmp_le_i32_e32 vcc, s51, v2
	s_waitcnt vmcnt(0)
	v_sub_f32_e32 v37, v37, v31
	global_store_dword v[34:35], v37, off
	global_load_dword v47, v3, s[82:83]
	v_add_co_u32_e64 v34, s[12:13], -4, v34
	v_addc_co_u32_e64 v35, s[12:13], -1, v35, s[12:13]
	s_add_u32 s82, s82, -4
	s_addc_u32 s83, s83, -1
	s_or_b64 s[46:47], vcc, s[46:47]
	s_waitcnt vmcnt(0)
	v_div_scale_f32 v46, s[12:13], v37, v37, v47
	v_rcp_f32_e32 v48, v46
	v_div_scale_f32 v49, vcc, v47, v37, v47
	v_fma_f32 v50, -v46, v48, 1.0
	v_fmac_f32_e32 v48, v50, v48
	v_mul_f32_e32 v50, v49, v48
	v_fma_f32 v51, -v46, v50, v49
	v_fmac_f32_e32 v50, v51, v48
	v_fma_f32 v46, -v46, v50, v49
	v_div_fmas_f32 v46, v46, v48, v50
	v_div_fixup_f32 v46, v46, v37, v47
	v_pk_fma_f32 v[32:33], v[46:47], v[46:47], v[32:33] op_sel_hi:[1,0,1]
	v_add_f32_e32 v36, v36, v33
	s_andn2_b64 exec, exec, s[46:47]
	s_cbranch_execnz .LBB8_197
; %bb.198:                              ;   in Loop: Header=BB8_156 Depth=3
	s_or_b64 exec, exec, s[46:47]
	s_branch .LBB8_154
.LBB8_199:                              ;   in Loop: Header=BB8_64 Depth=2
	s_or_b64 exec, exec, s[16:17]
	v_add_f32_e32 v7, v22, v45
.LBB8_200:                              ;   in Loop: Header=BB8_64 Depth=2
	s_or_b64 exec, exec, s[90:91]
                                        ; implicit-def: $vgpr14_vgpr15
                                        ; implicit-def: $vgpr20_vgpr21
	s_andn2_saveexec_b64 s[14:15], s[88:89]
	s_cbranch_execz .LBB8_74
.LBB8_201:                              ;   in Loop: Header=BB8_64 Depth=2
	v_mov_b32_e32 v2, s73
	v_add_co_u32_e32 v18, vcc, s72, v14
	v_addc_co_u32_e32 v19, vcc, v15, v2, vcc
	v_mov_b32_e32 v2, s69
	v_add_co_u32_e32 v22, vcc, s68, v14
	global_load_dword v16, v[18:19], off
	v_addc_co_u32_e32 v23, vcc, v15, v2, vcc
	global_load_dword v7, v[22:23], off offset:-8
	s_andn2_b64 vcc, exec, s[66:67]
	v_mov_b32_e32 v8, 0
	s_waitcnt vmcnt(1)
	v_add_f32_e32 v2, v44, v16
	s_cbranch_vccnz .LBB8_204
; %bb.202:                              ;   in Loop: Header=BB8_64 Depth=2
	v_mov_b32_e32 v8, 0
	s_mov_b64 s[4:5], s[60:61]
	v_pk_mov_b32 v[24:25], v[14:15], v[14:15] op_sel:[0,1]
	v_readlane_b32 s8, v56, 62
.LBB8_203:                              ;   Parent Loop BB8_4 Depth=1
                                        ;     Parent Loop BB8_64 Depth=2
                                        ; =>    This Inner Loop Header: Depth=3
	global_load_dword v11, v[24:25], off
	global_load_dword v17, v3, s[4:5]
	v_add_co_u32_e32 v24, vcc, 4, v24
	v_addc_co_u32_e32 v25, vcc, 0, v25, vcc
	s_add_i32 s8, s8, -1
	s_add_u32 s4, s4, 4
	s_addc_u32 s5, s5, 0
	s_cmp_lg_u32 s8, 0
	s_waitcnt vmcnt(1)
	v_sub_f32_e32 v11, v11, v2
	s_waitcnt vmcnt(0)
	v_div_scale_f32 v26, s[10:11], v11, v11, v17
	v_rcp_f32_e32 v27, v26
	v_div_scale_f32 v28, vcc, v17, v11, v17
	v_fma_f32 v29, -v26, v27, 1.0
	v_fmac_f32_e32 v27, v29, v27
	v_mul_f32_e32 v29, v28, v27
	v_fma_f32 v30, -v26, v29, v28
	v_fmac_f32_e32 v29, v30, v27
	v_fma_f32 v26, -v26, v29, v28
	v_div_fmas_f32 v26, v26, v27, v29
	v_div_fixup_f32 v11, v26, v11, v17
	v_fmac_f32_e32 v8, v17, v11
	s_cbranch_scc1 .LBB8_203
.LBB8_204:                              ;   in Loop: Header=BB8_64 Depth=2
	global_load_dword v24, v3, s[70:71] offset:-8
	global_load_dword v25, v3, s[74:75]
	s_waitcnt vmcnt(2)
	v_sub_f32_e32 v11, v7, v2
	v_add_f32_e32 v8, v6, v8
	v_add_f32_e32 v2, 0, v8
	v_sub_f32_e32 v7, v16, v7
	s_waitcnt vmcnt(0)
	v_pk_mul_f32 v[24:25], v[24:25], v[24:25]
	v_div_scale_f32 v17, s[4:5], v11, v11, v24
	v_rcp_f32_e32 v26, v17
	v_div_scale_f32 v27, vcc, v24, v11, v24
	v_add_f32_e32 v28, v25, v25
	v_fma_f32 v29, -v17, v26, 1.0
	v_fmac_f32_e32 v26, v29, v26
	v_mul_f32_e32 v29, v27, v26
	v_fma_f32 v30, -v17, v29, v27
	v_fmac_f32_e32 v29, v30, v26
	v_fma_f32 v17, -v17, v29, v27
	v_div_fmas_f32 v17, v17, v26, v29
	v_div_fixup_f32 v11, v17, v11, v24
	v_mul_f32_e32 v28, v6, v28
	v_add_f32_e32 v11, v2, v11
	v_cmp_ngt_f32_e32 vcc, v11, v28
                                        ; implicit-def: $vgpr11
                                        ; implicit-def: $vgpr27
                                        ; implicit-def: $vgpr26
	s_and_saveexec_b64 s[4:5], vcc
	s_xor_b64 s[8:9], exec, s[4:5]
	s_cbranch_execz .LBB8_212
; %bb.205:                              ;   in Loop: Header=BB8_64 Depth=2
	v_div_scale_f32 v11, s[4:5], v1, v1, v25
	v_rcp_f32_e32 v17, v11
	v_add_f32_e32 v26, v1, v7
	v_fma_f32 v27, -v11, v17, 1.0
	v_fmac_f32_e32 v17, v27, v17
	v_div_scale_f32 v27, vcc, v25, v1, v25
	v_mul_f32_e32 v28, v27, v17
	v_fma_f32 v29, -v11, v28, v27
	v_fmac_f32_e32 v28, v29, v17
	v_fma_f32 v11, -v11, v28, v27
	v_div_scale_f32 v27, s[4:5], v26, v26, v24
	v_rcp_f32_e32 v29, v27
	v_div_fmas_f32 v11, v11, v17, v28
	v_div_fixup_f32 v11, v11, v1, v25
	v_fma_f32 v17, -v27, v29, 1.0
	v_fmac_f32_e32 v29, v17, v29
	v_div_scale_f32 v17, vcc, v24, v26, v24
	v_mul_f32_e32 v28, v17, v29
	v_fma_f32 v30, -v27, v28, v17
	v_fmac_f32_e32 v28, v30, v29
	v_fma_f32 v17, -v27, v28, v17
	v_div_fmas_f32 v17, v17, v29, v28
	v_div_fixup_f32 v17, v17, v26, v24
	v_add_f32_e32 v11, v17, v11
	v_cmp_nle_f32_e32 vcc, v8, v11
	v_mov_b32_e32 v11, v1
	s_and_saveexec_b64 s[10:11], vcc
	s_cbranch_execz .LBB8_211
; %bb.206:                              ;   in Loop: Header=BB8_64 Depth=2
	v_fma_f32 v8, -v7, v2, v24
	v_mul_f32_e32 v7, v7, v25
	v_mul_f32_e32 v11, 4.0, v7
	v_add_f32_e32 v8, v25, v8
	v_mul_f32_e32 v11, v2, v11
	v_fmac_f32_e32 v11, v8, v8
	v_mul_f32_e32 v17, 0x4f800000, v11
	v_cmp_gt_f32_e32 vcc, s23, v11
	v_cndmask_b32_e32 v11, v11, v17, vcc
	v_sqrt_f32_e32 v17, v11
	v_add_u32_e32 v24, -1, v17
	v_fma_f32 v25, -v24, v17, v11
	v_cmp_ge_f32_e64 s[4:5], 0, v25
	v_add_u32_e32 v25, 1, v17
	v_cndmask_b32_e64 v24, v17, v24, s[4:5]
	v_fma_f32 v17, -v25, v17, v11
	v_cmp_lt_f32_e64 s[4:5], 0, v17
	v_cndmask_b32_e64 v17, v24, v25, s[4:5]
	v_mul_f32_e32 v24, 0x37800000, v17
	v_cndmask_b32_e32 v17, v17, v24, vcc
	v_cmp_class_f32_e32 vcc, v11, v42
	v_cndmask_b32_e32 v17, v17, v11, vcc
	v_cmp_ngt_f32_e32 vcc, 0, v8
                                        ; implicit-def: $vgpr11
	s_and_saveexec_b64 s[4:5], vcc
	s_xor_b64 s[4:5], exec, s[4:5]
	s_cbranch_execz .LBB8_208
; %bb.207:                              ;   in Loop: Header=BB8_64 Depth=2
	v_add_f32_e32 v7, v8, v17
	v_add_f32_e32 v2, v2, v2
	v_div_scale_f32 v8, s[12:13], v2, v2, v7
	v_rcp_f32_e32 v11, v8
	v_fma_f32 v17, -v8, v11, 1.0
	v_fmac_f32_e32 v11, v17, v11
	v_div_scale_f32 v17, vcc, v7, v2, v7
	v_mul_f32_e32 v24, v17, v11
	v_fma_f32 v25, -v8, v24, v17
	v_fmac_f32_e32 v24, v25, v11
	v_fma_f32 v8, -v8, v24, v17
	v_div_fmas_f32 v8, v8, v11, v24
	v_div_fixup_f32 v11, v8, v2, v7
                                        ; implicit-def: $vgpr7
                                        ; implicit-def: $vgpr17
                                        ; implicit-def: $vgpr8
.LBB8_208:                              ;   in Loop: Header=BB8_64 Depth=2
	s_andn2_saveexec_b64 s[4:5], s[4:5]
	s_cbranch_execz .LBB8_210
; %bb.209:                              ;   in Loop: Header=BB8_64 Depth=2
	v_add_f32_e32 v2, v7, v7
	v_sub_f32_e32 v7, v17, v8
	v_div_scale_f32 v8, s[12:13], v7, v7, v2
	v_rcp_f32_e32 v11, v8
	v_fma_f32 v17, -v8, v11, 1.0
	v_fmac_f32_e32 v11, v17, v11
	v_div_scale_f32 v17, vcc, v2, v7, v2
	v_mul_f32_e32 v24, v17, v11
	v_fma_f32 v25, -v8, v24, v17
	v_fmac_f32_e32 v24, v25, v11
	v_fma_f32 v8, -v8, v24, v17
	v_div_fmas_f32 v8, v8, v11, v24
	v_div_fixup_f32 v11, v8, v7, v2
.LBB8_210:                              ;   in Loop: Header=BB8_64 Depth=2
	s_or_b64 exec, exec, s[4:5]
.LBB8_211:                              ;   in Loop: Header=BB8_64 Depth=2
	s_or_b64 exec, exec, s[10:11]
	v_mov_b32_e32 v27, v1
	v_mov_b32_e32 v26, v44
                                        ; implicit-def: $vgpr7
                                        ; implicit-def: $vgpr2
                                        ; implicit-def: $vgpr24_vgpr25
.LBB8_212:                              ;   in Loop: Header=BB8_64 Depth=2
	s_andn2_saveexec_b64 s[8:9], s[8:9]
	s_cbranch_execz .LBB8_218
; %bb.213:                              ;   in Loop: Header=BB8_64 Depth=2
	v_fma_f32 v8, -v7, v2, v24
	v_mul_f32_e32 v7, v7, v25
	v_mul_f32_e32 v11, 4.0, v7
	v_add_f32_e32 v8, v25, v8
	v_mul_f32_e32 v11, v2, v11
	v_fmac_f32_e32 v11, v8, v8
	v_mul_f32_e32 v17, 0x4f800000, v11
	v_cmp_gt_f32_e32 vcc, s23, v11
	v_cndmask_b32_e32 v11, v11, v17, vcc
	v_sqrt_f32_e32 v17, v11
                                        ; implicit-def: $sgpr10
	v_add_u32_e32 v24, -1, v17
	v_fma_f32 v25, -v24, v17, v11
	v_cmp_ge_f32_e64 s[4:5], 0, v25
	v_add_u32_e32 v25, 1, v17
	v_cndmask_b32_e64 v24, v17, v24, s[4:5]
	v_fma_f32 v17, -v25, v17, v11
	v_cmp_lt_f32_e64 s[4:5], 0, v17
	v_cndmask_b32_e64 v17, v24, v25, s[4:5]
	v_mul_f32_e32 v24, 0x37800000, v17
	v_cndmask_b32_e32 v17, v17, v24, vcc
	v_cmp_class_f32_e32 vcc, v11, v42
	v_cndmask_b32_e32 v17, v17, v11, vcc
	v_cmp_ngt_f32_e32 vcc, 0, v8
                                        ; implicit-def: $vgpr11
	s_and_saveexec_b64 s[4:5], vcc
	s_xor_b64 s[4:5], exec, s[4:5]
	s_cbranch_execz .LBB8_215
; %bb.214:                              ;   in Loop: Header=BB8_64 Depth=2
	v_add_f32_e32 v7, v8, v17
	v_add_f32_e32 v2, v2, v2
	v_div_scale_f32 v8, s[10:11], v2, v2, v7
	v_rcp_f32_e32 v11, v8
	s_mov_b32 s10, 0
	v_fma_f32 v17, -v8, v11, 1.0
	v_fmac_f32_e32 v11, v17, v11
	v_div_scale_f32 v17, vcc, v7, v2, v7
	v_mul_f32_e32 v24, v17, v11
	v_fma_f32 v25, -v8, v24, v17
	v_fmac_f32_e32 v24, v25, v11
	v_fma_f32 v8, -v8, v24, v17
	v_div_fmas_f32 v8, v8, v11, v24
	v_div_fixup_f32 v11, v8, v2, v7
                                        ; implicit-def: $vgpr7
                                        ; implicit-def: $vgpr17
                                        ; implicit-def: $vgpr8
.LBB8_215:                              ;   in Loop: Header=BB8_64 Depth=2
	s_or_saveexec_b64 s[4:5], s[4:5]
	v_mov_b32_e32 v26, s10
	s_xor_b64 exec, exec, s[4:5]
	s_cbranch_execz .LBB8_217
; %bb.216:                              ;   in Loop: Header=BB8_64 Depth=2
	v_add_f32_e32 v2, v7, v7
	v_sub_f32_e32 v7, v17, v8
	v_div_scale_f32 v8, s[10:11], v7, v7, v2
	v_rcp_f32_e32 v11, v8
	v_mov_b32_e32 v26, 0
	v_fma_f32 v17, -v8, v11, 1.0
	v_fmac_f32_e32 v11, v17, v11
	v_div_scale_f32 v17, vcc, v2, v7, v2
	v_mul_f32_e32 v24, v17, v11
	v_fma_f32 v25, -v8, v24, v17
	v_fmac_f32_e32 v24, v25, v11
	v_fma_f32 v8, -v8, v24, v17
	v_div_fmas_f32 v8, v8, v11, v24
	v_div_fixup_f32 v11, v8, v7, v2
.LBB8_217:                              ;   in Loop: Header=BB8_64 Depth=2
	s_or_b64 exec, exec, s[4:5]
	v_mov_b32_e32 v27, v44
.LBB8_218:                              ;   in Loop: Header=BB8_64 Depth=2
	s_or_b64 exec, exec, s[8:9]
	v_cndmask_b32_e64 v2, 0, 1, s[76:77]
	v_cmp_ne_u32_e64 s[4:5], 1, v2
	s_andn2_b64 vcc, exec, s[76:77]
	v_mov_b32_e32 v2, v16
	s_cbranch_vccnz .LBB8_227
; %bb.219:                              ;   in Loop: Header=BB8_64 Depth=2
	v_readlane_b32 s8, v56, 63
	v_readlane_b32 s9, v55, 0
	s_and_b64 vcc, exec, s[8:9]
	s_cbranch_vccz .LBB8_223
; %bb.220:                              ;   in Loop: Header=BB8_64 Depth=2
	v_mov_b32_e32 v17, v16
	s_mov_b32 s10, s55
	v_pk_mov_b32 v[24:25], v[14:15], v[14:15] op_sel:[0,1]
.LBB8_221:                              ;   Parent Loop BB8_4 Depth=1
                                        ;     Parent Loop BB8_64 Depth=2
                                        ; =>    This Inner Loop Header: Depth=3
	global_load_dwordx2 v[28:29], v[24:25], off
	s_add_i32 s10, s10, -2
	s_mov_b32 s28, s55
	s_cmp_lg_u32 s10, 0
	s_mov_b64 s[8:9], s[80:81]
	s_waitcnt vmcnt(0)
	v_pk_add_f32 v[28:29], v[28:29], v[16:17] neg_lo:[0,1] neg_hi:[0,1]
	global_store_dwordx2 v[24:25], v[28:29], off
	v_add_co_u32_e32 v24, vcc, 8, v24
	v_addc_co_u32_e32 v25, vcc, 0, v25, vcc
	s_cbranch_scc1 .LBB8_221
; %bb.222:                              ;   in Loop: Header=BB8_64 Depth=2
	s_and_b64 vcc, exec, s[8:9]
	s_cbranch_vccnz .LBB8_224
	s_branch .LBB8_226
.LBB8_223:                              ;   in Loop: Header=BB8_64 Depth=2
	s_mov_b32 s28, 0
	s_cbranch_execz .LBB8_226
.LBB8_224:                              ;   in Loop: Header=BB8_64 Depth=2
	s_sub_i32 s8, s64, s28
	s_lshl_b64 s[10:11], s[28:29], 2
	s_add_u32 s9, s6, s10
	s_addc_u32 s10, s50, s11
	v_mov_b32_e32 v2, s10
	v_add_co_u32_e32 v20, vcc, s9, v20
	v_addc_co_u32_e32 v21, vcc, v2, v21, vcc
.LBB8_225:                              ;   Parent Loop BB8_4 Depth=1
                                        ;     Parent Loop BB8_64 Depth=2
                                        ; =>    This Inner Loop Header: Depth=3
	global_load_dword v2, v[20:21], off
	s_add_i32 s8, s8, -1
	s_cmp_eq_u32 s8, 0
	s_waitcnt vmcnt(0)
	v_sub_f32_e32 v2, v2, v16
	global_store_dword v[20:21], v2, off
	v_add_co_u32_e32 v20, vcc, 4, v20
	v_addc_co_u32_e32 v21, vcc, 0, v21, vcc
	s_cbranch_scc0 .LBB8_225
.LBB8_226:                              ;   in Loop: Header=BB8_64 Depth=2
	global_load_dword v2, v[18:19], off
.LBB8_227:                              ;   in Loop: Header=BB8_64 Depth=2
	s_waitcnt vmcnt(0)
	v_sub_f32_e32 v8, v2, v16
	s_and_b64 vcc, exec, s[4:5]
	v_mov_b32_e32 v17, 0
	v_mov_b32_e32 v7, 0
	v_mov_b32_e32 v2, 0
	global_store_dword v[18:19], v8, off
	s_cbranch_vccnz .LBB8_231
; %bb.228:                              ;   in Loop: Header=BB8_64 Depth=2
	v_mov_b32_e32 v17, 0
	s_mov_b64 s[8:9], s[60:61]
	v_pk_mov_b32 v[20:21], v[14:15], v[14:15] op_sel:[0,1]
	s_mov_b32 s10, s64
	v_mov_b32_e32 v7, 0
	v_mov_b32_e32 v2, v17
.LBB8_229:                              ;   Parent Loop BB8_4 Depth=1
                                        ;     Parent Loop BB8_64 Depth=2
                                        ; =>    This Inner Loop Header: Depth=3
	global_load_dword v8, v[20:21], off
	s_add_i32 s10, s10, -1
	s_waitcnt vmcnt(0)
	v_sub_f32_e32 v8, v8, v11
	global_store_dword v[20:21], v8, off
	global_load_dword v24, v3, s[8:9]
	v_add_co_u32_e32 v20, vcc, 4, v20
	v_addc_co_u32_e32 v21, vcc, 0, v21, vcc
	s_add_u32 s8, s8, 4
	s_addc_u32 s9, s9, 0
	s_cmp_eq_u32 s10, 0
	s_waitcnt vmcnt(0)
	v_div_scale_f32 v25, s[12:13], v8, v8, v24
	v_rcp_f32_e32 v28, v25
	v_div_scale_f32 v29, vcc, v24, v8, v24
	v_fma_f32 v30, -v25, v28, 1.0
	v_fmac_f32_e32 v28, v30, v28
	v_mul_f32_e32 v30, v29, v28
	v_fma_f32 v31, -v25, v30, v29
	v_fmac_f32_e32 v30, v31, v28
	v_fma_f32 v25, -v25, v30, v29
	v_div_fmas_f32 v25, v25, v28, v30
	v_div_fixup_f32 v8, v25, v8, v24
	v_fmac_f32_e32 v2, v24, v8
	v_fmac_f32_e32 v17, v8, v8
	v_add_f32_e32 v7, v7, v2
	s_cbranch_scc0 .LBB8_229
; %bb.230:                              ;   in Loop: Header=BB8_64 Depth=2
	global_load_dword v8, v[18:19], off
.LBB8_231:                              ;   in Loop: Header=BB8_64 Depth=2
	s_waitcnt vmcnt(0)
	v_sub_f32_e32 v20, v8, v11
	global_store_dword v[18:19], v20, off
	global_load_dword v21, v3, s[74:75]
	v_and_b32_e32 v8, 0x7fffffff, v7
	s_waitcnt vmcnt(0)
	v_div_scale_f32 v24, s[8:9], v20, v20, v21
	v_rcp_f32_e32 v25, v24
	v_div_scale_f32 v7, vcc, v21, v20, v21
	v_fma_f32 v28, -v24, v25, 1.0
	v_fmac_f32_e32 v25, v28, v25
	v_mul_f32_e32 v28, v7, v25
	v_fma_f32 v29, -v24, v28, v7
	v_fmac_f32_e32 v28, v29, v25
	v_fma_f32 v7, -v24, v28, v7
	v_div_fmas_f32 v7, v7, v25, v28
	v_div_fixup_f32 v25, v7, v20, v21
	v_mul_f32_e32 v7, v21, v25
	v_pk_add_f32 v[28:29], v[6:7], v[2:3]
	v_add_f32_e32 v2, v2, v29
	v_fma_f32 v24, v25, v25, v17
	v_mul_f32_e32 v2, 0xc1000000, v2
	v_fma_f32 v2, |v11|, v24, v2
	v_sub_f32_e32 v31, v2, v29
	v_mov_b32_e32 v30, v29
	v_add_f32_e32 v21, v28, v29
	v_pk_add_f32 v[28:29], v[8:9], v[30:31]
	v_add_f32_e32 v2, v28, v29
	v_mul_f32_e32 v2, s37, v2
	v_cmp_nle_f32_e64 s[8:9], |v21|, v2
	s_and_saveexec_b64 s[16:17], s[8:9]
	s_cbranch_execz .LBB8_273
; %bb.232:                              ;   in Loop: Header=BB8_64 Depth=2
	global_load_dword v2, v[22:23], off offset:-8
	v_mul_f32_e32 v7, v25, v25
	v_cmp_lt_f32_e64 s[10:11], 0, v21
	v_cmp_lt_f32_e64 s[8:9], v11, v27
	s_waitcnt vmcnt(0)
	v_fma_f32 v8, -v17, v2, v21
	v_fma_f32 v8, -v20, v7, v8
	v_cmp_neq_f32_e32 vcc, 0, v8
                                        ; implicit-def: $vgpr7
	s_and_saveexec_b64 s[12:13], vcc
	s_xor_b64 s[40:41], exec, s[12:13]
	s_cbranch_execz .LBB8_238
; %bb.233:                              ;   in Loop: Header=BB8_64 Depth=2
	v_mul_f32_e32 v17, v20, v2
	v_add_f32_e32 v7, v20, v2
	v_mul_f32_e32 v2, v24, v17
	v_mul_f32_e32 v17, v21, v17
	v_fma_f32 v2, v21, v7, -v2
	v_mul_f32_e32 v7, -4.0, v17
	v_mul_f32_e64 v7, v7, |v8|
	v_fmac_f32_e32 v7, v2, v2
	v_mul_f32_e64 v25, |v7|, s36
	v_cmp_lt_f32_e64 vcc, |v7|, s23
	v_cndmask_b32_e64 v7, |v7|, v25, vcc
	v_sqrt_f32_e32 v25, v7
	v_add_u32_e32 v28, -1, v25
	v_fma_f32 v29, -v28, v25, v7
	v_cmp_ge_f32_e64 s[12:13], 0, v29
	v_add_u32_e32 v29, 1, v25
	v_cndmask_b32_e64 v28, v25, v28, s[12:13]
	v_fma_f32 v25, -v29, v25, v7
	v_cmp_lt_f32_e64 s[12:13], 0, v25
	v_cndmask_b32_e64 v25, v28, v29, s[12:13]
	v_mul_f32_e32 v28, 0x37800000, v25
	v_cndmask_b32_e32 v25, v25, v28, vcc
	v_cmp_class_f32_e32 vcc, v7, v42
	v_cndmask_b32_e32 v25, v25, v7, vcc
	v_cmp_le_f32_e32 vcc, 0, v2
                                        ; implicit-def: $vgpr7
	s_and_saveexec_b64 s[12:13], vcc
	s_xor_b64 s[12:13], exec, s[12:13]
	s_cbranch_execz .LBB8_235
; %bb.234:                              ;   in Loop: Header=BB8_64 Depth=2
	v_add_f32_e32 v2, v2, v25
	v_add_f32_e64 v7, |v8|, |v8|
	v_div_scale_f32 v8, s[42:43], v7, v7, v2
	v_rcp_f32_e32 v17, v8
	v_fma_f32 v25, -v8, v17, 1.0
	v_fmac_f32_e32 v17, v25, v17
	v_div_scale_f32 v25, vcc, v2, v7, v2
	v_mul_f32_e32 v28, v25, v17
	v_fma_f32 v29, -v8, v28, v25
	v_fmac_f32_e32 v28, v29, v17
	v_fma_f32 v8, -v8, v28, v25
	v_div_fmas_f32 v8, v8, v17, v28
	v_div_fixup_f32 v7, v8, v7, v2
                                        ; implicit-def: $vgpr17
                                        ; implicit-def: $vgpr2
                                        ; implicit-def: $vgpr25
.LBB8_235:                              ;   in Loop: Header=BB8_64 Depth=2
	s_andn2_saveexec_b64 s[12:13], s[12:13]
	s_cbranch_execz .LBB8_237
; %bb.236:                              ;   in Loop: Header=BB8_64 Depth=2
	v_add_f32_e32 v7, v17, v17
	v_sub_f32_e32 v2, v2, v25
	v_div_scale_f32 v8, s[42:43], v2, v2, v7
	v_rcp_f32_e32 v17, v8
	v_fma_f32 v25, -v8, v17, 1.0
	v_fmac_f32_e32 v17, v25, v17
	v_div_scale_f32 v25, vcc, v7, v2, v7
	v_mul_f32_e32 v28, v25, v17
	v_fma_f32 v29, -v8, v28, v25
	v_fmac_f32_e32 v28, v29, v17
	v_fma_f32 v8, -v8, v28, v25
	v_div_fmas_f32 v8, v8, v17, v28
	v_div_fixup_f32 v7, v8, v2, v7
.LBB8_237:                              ;   in Loop: Header=BB8_64 Depth=2
	s_or_b64 exec, exec, s[12:13]
.LBB8_238:                              ;   in Loop: Header=BB8_64 Depth=2
	s_or_saveexec_b64 s[12:13], s[40:41]
	s_and_b64 vcc, s[8:9], s[10:11]
	v_cndmask_b32_e32 v17, v27, v11, vcc
	s_xor_b64 exec, exec, s[12:13]
; %bb.239:                              ;   in Loop: Header=BB8_64 Depth=2
	v_sub_f32_e32 v7, v17, v11
; %bb.240:                              ;   in Loop: Header=BB8_64 Depth=2
	s_or_b64 exec, exec, s[12:13]
	v_mul_f32_e32 v2, v21, v7
	v_cmp_lt_f32_e32 vcc, 0, v2
	s_and_saveexec_b64 s[8:9], vcc
; %bb.241:                              ;   in Loop: Header=BB8_64 Depth=2
	v_div_scale_f32 v2, s[10:11], v24, v24, -v21
	v_rcp_f32_e32 v7, v2
	v_div_scale_f32 v8, vcc, -v21, v24, -v21
	v_fma_f32 v25, -v2, v7, 1.0
	v_fmac_f32_e32 v7, v25, v7
	v_mul_f32_e32 v25, v8, v7
	v_fma_f32 v27, -v2, v25, v8
	v_fmac_f32_e32 v25, v27, v7
	v_fma_f32 v2, -v2, v25, v8
	v_div_fmas_f32 v2, v2, v7, v25
	v_div_fixup_f32 v7, v2, v24, -v21
; %bb.242:                              ;   in Loop: Header=BB8_64 Depth=2
	s_or_b64 exec, exec, s[8:9]
	v_cmp_lt_f32_e32 vcc, v26, v11
	v_cndmask_b32_e32 v2, v26, v11, vcc
	v_cmp_nge_f32_e32 vcc, 0, v21
	v_cndmask_b32_e32 v24, v2, v26, vcc
	v_add_f32_e32 v2, v11, v7
	v_cmp_gt_f32_e32 vcc, v2, v17
	v_cmp_lt_f32_e64 s[8:9], v2, v24
	s_or_b64 s[10:11], vcc, s[8:9]
	s_and_saveexec_b64 s[8:9], s[10:11]
	s_cbranch_execz .LBB8_248
; %bb.243:                              ;   in Loop: Header=BB8_64 Depth=2
	v_cmp_ngt_f32_e32 vcc, 0, v21
                                        ; implicit-def: $vgpr7
	s_and_saveexec_b64 s[10:11], vcc
	s_xor_b64 s[10:11], exec, s[10:11]
; %bb.244:                              ;   in Loop: Header=BB8_64 Depth=2
	v_sub_f32_e32 v2, v24, v11
	v_mul_f32_e32 v7, 0.5, v2
; %bb.245:                              ;   in Loop: Header=BB8_64 Depth=2
	s_andn2_saveexec_b64 s[10:11], s[10:11]
; %bb.246:                              ;   in Loop: Header=BB8_64 Depth=2
	v_sub_f32_e32 v2, v17, v11
	v_mul_f32_e32 v7, 0.5, v2
; %bb.247:                              ;   in Loop: Header=BB8_64 Depth=2
	s_or_b64 exec, exec, s[10:11]
.LBB8_248:                              ;   in Loop: Header=BB8_64 Depth=2
	s_or_b64 exec, exec, s[8:9]
	s_and_b64 vcc, exec, s[4:5]
	v_mov_b32_e32 v25, 0
	v_mov_b32_e32 v8, 0
	;; [unrolled: 1-line block ×3, first 2 shown]
	s_cbranch_vccnz .LBB8_252
; %bb.249:                              ;   in Loop: Header=BB8_64 Depth=2
	v_mov_b32_e32 v25, 0
	s_mov_b64 s[8:9], s[60:61]
	v_pk_mov_b32 v[20:21], v[14:15], v[14:15] op_sel:[0,1]
	s_mov_b32 s10, s64
	v_mov_b32_e32 v8, 0
	v_mov_b32_e32 v2, v25
.LBB8_250:                              ;   Parent Loop BB8_4 Depth=1
                                        ;     Parent Loop BB8_64 Depth=2
                                        ; =>    This Inner Loop Header: Depth=3
	global_load_dword v26, v[20:21], off
	s_add_i32 s10, s10, -1
	s_waitcnt vmcnt(0)
	v_sub_f32_e32 v26, v26, v7
	global_store_dword v[20:21], v26, off
	global_load_dword v27, v3, s[8:9]
	v_add_co_u32_e32 v20, vcc, 4, v20
	v_addc_co_u32_e32 v21, vcc, 0, v21, vcc
	s_add_u32 s8, s8, 4
	s_addc_u32 s9, s9, 0
	s_cmp_eq_u32 s10, 0
	s_waitcnt vmcnt(0)
	v_div_scale_f32 v28, s[12:13], v26, v26, v27
	v_rcp_f32_e32 v29, v28
	v_div_scale_f32 v30, vcc, v27, v26, v27
	v_fma_f32 v31, -v28, v29, 1.0
	v_fmac_f32_e32 v29, v31, v29
	v_mul_f32_e32 v31, v30, v29
	v_fma_f32 v32, -v28, v31, v30
	v_fmac_f32_e32 v31, v32, v29
	v_fma_f32 v28, -v28, v31, v30
	v_div_fmas_f32 v28, v28, v29, v31
	v_div_fixup_f32 v26, v28, v26, v27
	v_fmac_f32_e32 v2, v27, v26
	v_fmac_f32_e32 v25, v26, v26
	v_add_f32_e32 v8, v8, v2
	s_cbranch_scc0 .LBB8_250
; %bb.251:                              ;   in Loop: Header=BB8_64 Depth=2
	global_load_dword v20, v[18:19], off
.LBB8_252:                              ;   in Loop: Header=BB8_64 Depth=2
	s_waitcnt vmcnt(0)
	v_sub_f32_e32 v20, v20, v7
	global_store_dword v[18:19], v20, off
	global_load_dword v26, v3, s[74:75]
	v_add_f32_e32 v11, v11, v7
	v_and_b32_e32 v8, 0x7fffffff, v8
	s_waitcnt vmcnt(0)
	v_div_scale_f32 v7, s[8:9], v20, v20, v26
	v_rcp_f32_e32 v21, v7
	v_div_scale_f32 v27, vcc, v26, v20, v26
	v_fma_f32 v28, -v7, v21, 1.0
	v_fmac_f32_e32 v21, v28, v21
	v_mul_f32_e32 v28, v27, v21
	v_fma_f32 v29, -v7, v28, v27
	v_fmac_f32_e32 v28, v29, v21
	v_fma_f32 v7, -v7, v28, v27
	v_div_fmas_f32 v7, v7, v21, v28
	v_div_fixup_f32 v21, v7, v20, v26
	v_mul_f32_e32 v7, v26, v21
	v_pk_add_f32 v[26:27], v[6:7], v[2:3]
	v_add_f32_e32 v2, v2, v27
	v_fma_f32 v28, v21, v21, v25
	v_mul_f32_e32 v2, 0xc1000000, v2
	v_fma_f32 v2, |v11|, v28, v2
	v_sub_f32_e32 v29, v2, v27
	v_mov_b32_e32 v28, v27
	v_add_f32_e32 v7, v26, v27
	v_pk_add_f32 v[26:27], v[8:9], v[28:29]
	v_add_f32_e32 v2, v26, v27
	v_mul_f32_e32 v2, s37, v2
	v_cmp_nle_f32_e64 s[8:9], |v7|, v2
	s_and_saveexec_b64 s[10:11], s[8:9]
	s_cbranch_execz .LBB8_272
; %bb.253:                              ;   in Loop: Header=BB8_64 Depth=2
	v_mul_f32_e32 v21, v21, v21
	s_mov_b32 s28, 1
	s_mov_b64 s[12:13], 0
	s_branch .LBB8_255
.LBB8_254:                              ;   in Loop: Header=BB8_255 Depth=3
	s_waitcnt vmcnt(0)
	v_sub_f32_e32 v20, v20, v8
	global_store_dword v[18:19], v20, off
	global_load_dword v21, v3, s[74:75]
	v_add_f32_e32 v11, v11, v8
	v_and_b32_e32 v8, 0x7fffffff, v7
	s_add_i32 s40, s28, 1
	s_cmp_gt_u32 s28, 48
	s_mov_b32 s28, s40
	s_waitcnt vmcnt(0)
	v_div_scale_f32 v7, s[8:9], v20, v20, v21
	v_rcp_f32_e32 v26, v7
	v_div_scale_f32 v27, vcc, v21, v20, v21
	s_cselect_b64 s[8:9], -1, 0
	v_fma_f32 v28, -v7, v26, 1.0
	v_fmac_f32_e32 v26, v28, v26
	v_mul_f32_e32 v28, v27, v26
	v_fma_f32 v29, -v7, v28, v27
	v_fmac_f32_e32 v28, v29, v26
	v_fma_f32 v7, -v7, v28, v27
	v_div_fmas_f32 v7, v7, v26, v28
	v_div_fixup_f32 v26, v7, v20, v21
	v_mul_f32_e32 v7, v21, v26
	v_mul_f32_e32 v21, v26, v26
	v_fma_f32 v28, v26, v26, v25
	v_pk_add_f32 v[26:27], v[6:7], v[2:3]
	v_add_f32_e32 v2, v2, v27
	v_mul_f32_e32 v2, 0xc1000000, v2
	v_fma_f32 v2, |v11|, v28, v2
	v_add_f32_e32 v7, v26, v27
	v_mov_b32_e32 v26, v27
	v_sub_f32_e32 v27, v2, v27
	v_pk_add_f32 v[26:27], v[8:9], v[26:27]
	v_add_f32_e32 v2, v26, v27
	v_and_b32_e32 v8, 0x7fffffff, v7
	v_mul_f32_e32 v2, s37, v2
	v_cmp_le_f32_e32 vcc, v8, v2
	s_or_b64 s[8:9], s[8:9], vcc
	s_and_b64 s[8:9], exec, s[8:9]
	s_or_b64 s[12:13], s[8:9], s[12:13]
	s_andn2_b64 exec, exec, s[12:13]
	s_cbranch_execz .LBB8_271
.LBB8_255:                              ;   Parent Loop BB8_4 Depth=1
                                        ;     Parent Loop BB8_64 Depth=2
                                        ; =>    This Loop Header: Depth=3
                                        ;         Child Loop BB8_269 Depth 4
	global_load_dword v8, v[22:23], off offset:-8
	v_add_f32_e32 v2, v21, v25
	s_waitcnt vmcnt(0)
	v_fma_f32 v25, -v25, v8, v7
	v_add_f32_e32 v27, v20, v8
	v_mul_f32_e32 v8, v20, v8
	v_fma_f32 v26, -v20, v21, v25
	v_mul_f32_e32 v25, v7, v8
	v_mul_f32_e32 v21, v2, v8
	v_mul_f32_e32 v8, -4.0, v25
	v_fma_f32 v21, v7, v27, -v21
	v_mul_f32_e32 v8, v8, v26
	v_fmac_f32_e32 v8, v21, v21
	v_mul_f32_e64 v27, |v8|, s36
	v_cmp_lt_f32_e64 vcc, |v8|, s23
	v_cndmask_b32_e64 v8, |v8|, v27, vcc
	v_sqrt_f32_e32 v27, v8
	v_add_u32_e32 v28, -1, v27
	v_add_u32_e32 v29, 1, v27
	v_fma_f32 v30, -v28, v27, v8
	v_fma_f32 v31, -v29, v27, v8
	v_cmp_ge_f32_e64 s[8:9], 0, v30
	v_cndmask_b32_e64 v27, v27, v28, s[8:9]
	v_cmp_lt_f32_e64 s[8:9], 0, v31
	v_cndmask_b32_e64 v27, v27, v29, s[8:9]
	v_mul_f32_e32 v28, 0x37800000, v27
	v_cndmask_b32_e32 v27, v27, v28, vcc
	v_cmp_class_f32_e32 vcc, v8, v42
	v_cndmask_b32_e32 v27, v27, v8, vcc
	v_cmp_le_f32_e32 vcc, 0, v21
                                        ; implicit-def: $vgpr8
	s_and_saveexec_b64 s[8:9], vcc
	s_xor_b64 s[8:9], exec, s[8:9]
	s_cbranch_execz .LBB8_257
; %bb.256:                              ;   in Loop: Header=BB8_255 Depth=3
	v_add_f32_e32 v8, v21, v27
	v_add_f32_e32 v21, v26, v26
	v_div_scale_f32 v25, s[40:41], v21, v21, v8
	v_rcp_f32_e32 v26, v25
	v_fma_f32 v27, -v25, v26, 1.0
	v_fmac_f32_e32 v26, v27, v26
	v_div_scale_f32 v27, vcc, v8, v21, v8
	v_mul_f32_e32 v28, v27, v26
	v_fma_f32 v29, -v25, v28, v27
	v_fmac_f32_e32 v28, v29, v26
	v_fma_f32 v25, -v25, v28, v27
	v_div_fmas_f32 v25, v25, v26, v28
	v_div_fixup_f32 v8, v25, v21, v8
                                        ; implicit-def: $vgpr25
                                        ; implicit-def: $vgpr21
                                        ; implicit-def: $vgpr27
.LBB8_257:                              ;   in Loop: Header=BB8_255 Depth=3
	s_andn2_saveexec_b64 s[8:9], s[8:9]
	s_cbranch_execz .LBB8_259
; %bb.258:                              ;   in Loop: Header=BB8_255 Depth=3
	v_add_f32_e32 v8, v25, v25
	v_sub_f32_e32 v21, v21, v27
	v_div_scale_f32 v25, s[40:41], v21, v21, v8
	v_rcp_f32_e32 v26, v25
	v_fma_f32 v27, -v25, v26, 1.0
	v_fmac_f32_e32 v26, v27, v26
	v_div_scale_f32 v27, vcc, v8, v21, v8
	v_mul_f32_e32 v28, v27, v26
	v_fma_f32 v29, -v25, v28, v27
	v_fmac_f32_e32 v28, v29, v26
	v_fma_f32 v25, -v25, v28, v27
	v_div_fmas_f32 v25, v25, v26, v28
	v_div_fixup_f32 v8, v25, v21, v8
.LBB8_259:                              ;   in Loop: Header=BB8_255 Depth=3
	s_or_b64 exec, exec, s[8:9]
	v_mul_f32_e32 v21, v7, v8
	v_cmp_lt_f32_e32 vcc, 0, v21
	s_and_saveexec_b64 s[8:9], vcc
; %bb.260:                              ;   in Loop: Header=BB8_255 Depth=3
	v_div_scale_f32 v8, s[40:41], v2, v2, -v7
	v_rcp_f32_e32 v21, v8
	v_div_scale_f32 v25, vcc, -v7, v2, -v7
	v_fma_f32 v26, -v8, v21, 1.0
	v_fmac_f32_e32 v21, v26, v21
	v_mul_f32_e32 v26, v25, v21
	v_fma_f32 v27, -v8, v26, v25
	v_fmac_f32_e32 v26, v27, v21
	v_fma_f32 v8, -v8, v26, v25
	v_div_fmas_f32 v8, v8, v21, v26
	v_div_fixup_f32 v8, v8, v2, -v7
; %bb.261:                              ;   in Loop: Header=BB8_255 Depth=3
	s_or_b64 exec, exec, s[8:9]
	v_cmp_lt_f32_e32 vcc, v24, v11
	v_cndmask_b32_e32 v2, v24, v11, vcc
	v_cmp_nge_f32_e32 vcc, 0, v7
	v_cndmask_b32_e32 v24, v2, v24, vcc
	v_cmp_lt_f32_e32 vcc, 0, v7
	v_cmp_lt_f32_e64 s[8:9], v11, v17
	s_and_b64 vcc, vcc, s[8:9]
	v_cndmask_b32_e32 v17, v17, v11, vcc
	v_add_f32_e32 v2, v11, v8
	v_cmp_gt_f32_e32 vcc, v2, v17
	v_cmp_lt_f32_e64 s[8:9], v2, v24
	s_or_b64 s[40:41], vcc, s[8:9]
	s_and_saveexec_b64 s[8:9], s[40:41]
	s_cbranch_execz .LBB8_267
; %bb.262:                              ;   in Loop: Header=BB8_255 Depth=3
	v_cmp_ngt_f32_e32 vcc, 0, v7
                                        ; implicit-def: $vgpr8
	s_and_saveexec_b64 s[40:41], vcc
	s_xor_b64 s[40:41], exec, s[40:41]
; %bb.263:                              ;   in Loop: Header=BB8_255 Depth=3
	v_sub_f32_e32 v2, v24, v11
	v_mul_f32_e32 v8, 0.5, v2
; %bb.264:                              ;   in Loop: Header=BB8_255 Depth=3
	s_andn2_saveexec_b64 s[40:41], s[40:41]
; %bb.265:                              ;   in Loop: Header=BB8_255 Depth=3
	v_sub_f32_e32 v2, v17, v11
	v_mul_f32_e32 v8, 0.5, v2
; %bb.266:                              ;   in Loop: Header=BB8_255 Depth=3
	s_or_b64 exec, exec, s[40:41]
.LBB8_267:                              ;   in Loop: Header=BB8_255 Depth=3
	s_or_b64 exec, exec, s[8:9]
	s_and_b64 vcc, exec, s[4:5]
	v_mov_b32_e32 v25, 0
	v_mov_b32_e32 v7, 0
	;; [unrolled: 1-line block ×3, first 2 shown]
	s_cbranch_vccnz .LBB8_254
; %bb.268:                              ;   in Loop: Header=BB8_255 Depth=3
	v_mov_b32_e32 v25, 0
	s_mov_b64 s[8:9], s[60:61]
	v_pk_mov_b32 v[20:21], v[14:15], v[14:15] op_sel:[0,1]
	s_mov_b32 s40, s64
	v_mov_b32_e32 v7, 0
	v_mov_b32_e32 v2, v25
.LBB8_269:                              ;   Parent Loop BB8_4 Depth=1
                                        ;     Parent Loop BB8_64 Depth=2
                                        ;       Parent Loop BB8_255 Depth=3
                                        ; =>      This Inner Loop Header: Depth=4
	global_load_dword v26, v[20:21], off
	s_add_i32 s40, s40, -1
	s_waitcnt vmcnt(0)
	v_sub_f32_e32 v26, v26, v8
	global_store_dword v[20:21], v26, off
	global_load_dword v27, v3, s[8:9]
	v_add_co_u32_e32 v20, vcc, 4, v20
	v_addc_co_u32_e32 v21, vcc, 0, v21, vcc
	s_add_u32 s8, s8, 4
	s_addc_u32 s9, s9, 0
	s_cmp_eq_u32 s40, 0
	s_waitcnt vmcnt(0)
	v_div_scale_f32 v28, s[42:43], v26, v26, v27
	v_rcp_f32_e32 v29, v28
	v_div_scale_f32 v30, vcc, v27, v26, v27
	v_fma_f32 v31, -v28, v29, 1.0
	v_fmac_f32_e32 v29, v31, v29
	v_mul_f32_e32 v31, v30, v29
	v_fma_f32 v32, -v28, v31, v30
	v_fmac_f32_e32 v31, v32, v29
	v_fma_f32 v28, -v28, v31, v30
	v_div_fmas_f32 v28, v28, v29, v31
	v_div_fixup_f32 v26, v28, v26, v27
	v_fmac_f32_e32 v2, v27, v26
	v_fmac_f32_e32 v25, v26, v26
	v_add_f32_e32 v7, v7, v2
	s_cbranch_scc0 .LBB8_269
; %bb.270:                              ;   in Loop: Header=BB8_255 Depth=3
	global_load_dword v20, v[18:19], off
	s_branch .LBB8_254
.LBB8_271:                              ;   in Loop: Header=BB8_64 Depth=2
	s_or_b64 exec, exec, s[12:13]
.LBB8_272:                              ;   in Loop: Header=BB8_64 Depth=2
	s_or_b64 exec, exec, s[10:11]
.LBB8_273:                              ;   in Loop: Header=BB8_64 Depth=2
	s_or_b64 exec, exec, s[16:17]
	v_add_f32_e32 v7, v16, v11
	s_or_b64 exec, exec, s[14:15]
	global_store_dword v[12:13], v7, off
	s_and_b64 exec, exec, s[2:3]
	s_cbranch_execz .LBB8_63
.LBB8_274:                              ;   in Loop: Header=BB8_64 Depth=2
	v_xor_b32_e32 v2, 0x80000000, v7
	global_store_dword v[12:13], v2, off
	s_branch .LBB8_63
.LBB8_275:                              ;   in Loop: Header=BB8_4 Depth=1
	v_readlane_b32 s0, v56, 60
	v_readlane_b32 s1, v56, 61
	s_or_b64 exec, exec, s[0:1]
; %bb.276:                              ;   in Loop: Header=BB8_4 Depth=1
	s_barrier
	s_mov_b64 s[4:5], exec
	v_readlane_b32 s0, v56, 58
	v_readlane_b32 s1, v56, 59
	;; [unrolled: 1-line block ×3, first 2 shown]
	s_and_b64 s[0:1], s[4:5], s[0:1]
	v_readlane_b32 s45, v56, 55
	s_mov_b64 exec, s[0:1]
	s_cbranch_execz .LBB8_2
; %bb.277:                              ;   in Loop: Header=BB8_4 Depth=1
	s_add_u32 s8, s38, s56
	s_addc_u32 s9, s39, s57
	v_readlane_b32 s0, v56, 9
	s_add_u32 s0, s0, s56
	v_readlane_b32 s1, v56, 11
	s_addc_u32 s1, s1, s57
	s_add_u32 s6, s0, 8
	s_addc_u32 s16, s1, 0
	v_readlane_b32 s0, v56, 56
	s_add_u32 s10, s0, 8
	v_readlane_b32 s0, v56, 57
	s_addc_u32 s11, s0, 0
	s_mov_b64 s[12:13], 0
	v_mov_b32_e32 v2, v0
	s_branch .LBB8_280
.LBB8_278:                              ;   in Loop: Header=BB8_280 Depth=2
	v_mov_b32_e32 v1, 1.0
.LBB8_279:                              ;   in Loop: Header=BB8_280 Depth=2
	v_mov_b32_e32 v8, s61
	v_add_co_u32_e32 v6, vcc, s60, v6
	v_addc_co_u32_e32 v7, vcc, v8, v7, vcc
	global_load_dword v8, v[6:7], off
	v_mul_f32_e64 v9, |v1|, s36
	v_cmp_lt_f32_e64 vcc, |v1|, s23
	v_cndmask_b32_e64 v1, |v1|, v9, vcc
	v_sqrt_f32_e32 v9, v1
	v_add_u32_e32 v2, s30, v2
	v_cmp_le_i32_e64 s[0:1], s54, v2
	s_or_b64 s[12:13], s[0:1], s[12:13]
	v_add_u32_e32 v10, -1, v9
	v_add_u32_e32 v11, 1, v9
	v_fma_f32 v12, -v10, v9, v1
	v_fma_f32 v13, -v11, v9, v1
	v_cmp_ge_f32_e64 s[2:3], 0, v12
	v_cndmask_b32_e64 v9, v9, v10, s[2:3]
	v_cmp_lt_f32_e64 s[2:3], 0, v13
	v_cndmask_b32_e64 v9, v9, v11, s[2:3]
	v_mul_f32_e32 v10, 0x37800000, v9
	v_cndmask_b32_e32 v9, v9, v10, vcc
	v_cmp_class_f32_e32 vcc, v1, v42
	v_cndmask_b32_e32 v1, v9, v1, vcc
	s_waitcnt vmcnt(0)
	v_cmp_gt_f32_e32 vcc, 0, v8
	v_cndmask_b32_e64 v1, v1, -v1, vcc
	global_store_dword v[6:7], v1, off
	s_andn2_b64 exec, exec, s[12:13]
	s_cbranch_execz .LBB8_2
.LBB8_280:                              ;   Parent Loop BB8_4 Depth=1
                                        ; =>  This Loop Header: Depth=2
                                        ;       Child Loop BB8_284 Depth 3
	s_andn2_b64 vcc, exec, s[52:53]
	s_waitcnt vmcnt(0)
	v_lshlrev_b64 v[6:7], 2, v[2:3]
	s_cbranch_vccnz .LBB8_278
; %bb.281:                              ;   in Loop: Header=BB8_280 Depth=2
	v_mov_b32_e32 v1, s16
	v_add_co_u32_e32 v8, vcc, s6, v6
	v_addc_co_u32_e32 v9, vcc, v1, v7, vcc
	s_mov_b32 s17, 0
	v_mov_b32_e32 v1, 1.0
	s_mov_b64 s[0:1], s[8:9]
	s_mov_b64 s[2:3], s[10:11]
	v_mov_b32_e32 v10, v2
	s_branch .LBB8_284
.LBB8_282:                              ;   in Loop: Header=BB8_284 Depth=3
	s_or_b64 exec, exec, s[14:15]
	s_waitcnt vmcnt(0)
	v_mul_f32_e32 v1, v1, v11
.LBB8_283:                              ;   in Loop: Header=BB8_284 Depth=3
	s_add_i32 s17, s17, 1
	s_add_u32 s2, s2, 4
	s_addc_u32 s3, s3, 0
	s_add_u32 s0, s0, 4
	s_addc_u32 s1, s1, 0
	s_cmp_eq_u32 s19, s17
	v_add_u32_e32 v10, s22, v10
	s_cbranch_scc1 .LBB8_279
.LBB8_284:                              ;   Parent Loop BB8_4 Depth=1
                                        ;     Parent Loop BB8_280 Depth=2
                                        ; =>    This Inner Loop Header: Depth=3
	global_load_dword v11, v3, s[2:3]
	s_waitcnt vmcnt(0)
	v_cmp_ne_u32_e32 vcc, 1, v11
	s_cbranch_vccnz .LBB8_283
; %bb.285:                              ;   in Loop: Header=BB8_284 Depth=3
	v_ashrrev_i32_e32 v11, 31, v10
	v_lshlrev_b64 v[12:13], 2, v[10:11]
	v_mov_b32_e32 v11, s78
	v_add_co_u32_e32 v14, vcc, s31, v12
	v_addc_co_u32_e32 v15, vcc, v11, v13, vcc
	global_load_dword v12, v[8:9], off
	global_load_dword v11, v[14:15], off
	s_waitcnt vmcnt(1)
	v_cmp_ne_u32_e32 vcc, s17, v12
	s_and_saveexec_b64 s[14:15], vcc
	s_cbranch_execz .LBB8_282
; %bb.286:                              ;   in Loop: Header=BB8_284 Depth=3
	v_ashrrev_i32_e32 v13, 31, v12
	v_lshlrev_b64 v[12:13], 2, v[12:13]
	v_mov_b32_e32 v14, s9
	v_add_co_u32_e32 v12, vcc, s8, v12
	v_addc_co_u32_e32 v13, vcc, v14, v13, vcc
	global_load_dword v14, v3, s[0:1]
	s_nop 0
	global_load_dword v12, v[12:13], off
	s_waitcnt vmcnt(0)
	v_sub_f32_e32 v12, v12, v14
	v_div_scale_f32 v13, s[20:21], v12, v12, v11
	v_rcp_f32_e32 v14, v13
	v_div_scale_f32 v15, vcc, v11, v12, v11
	v_fma_f32 v16, -v13, v14, 1.0
	v_fmac_f32_e32 v14, v16, v14
	v_mul_f32_e32 v16, v15, v14
	v_fma_f32 v17, -v13, v16, v15
	v_fmac_f32_e32 v16, v17, v14
	v_fma_f32 v13, -v13, v16, v15
	v_div_fmas_f32 v13, v13, v14, v16
	v_div_fixup_f32 v11, v13, v12, v11
	s_branch .LBB8_282
.LBB8_287:
	s_endpgm
	.section	.rodata,"a",@progbits
	.p2align	6, 0x0
	.amdhsa_kernel _ZN9rocsolver6v33100L25stedcx_mergeValues_kernelIfEEviiPT_lS3_lS3_S3_PiS2_S2_S2_
		.amdhsa_group_segment_fixed_size 0
		.amdhsa_private_segment_fixed_size 0
		.amdhsa_kernarg_size 336
		.amdhsa_user_sgpr_count 6
		.amdhsa_user_sgpr_private_segment_buffer 1
		.amdhsa_user_sgpr_dispatch_ptr 0
		.amdhsa_user_sgpr_queue_ptr 0
		.amdhsa_user_sgpr_kernarg_segment_ptr 1
		.amdhsa_user_sgpr_dispatch_id 0
		.amdhsa_user_sgpr_flat_scratch_init 0
		.amdhsa_user_sgpr_kernarg_preload_length 0
		.amdhsa_user_sgpr_kernarg_preload_offset 0
		.amdhsa_user_sgpr_private_segment_size 0
		.amdhsa_uses_dynamic_stack 0
		.amdhsa_system_sgpr_private_segment_wavefront_offset 0
		.amdhsa_system_sgpr_workgroup_id_x 1
		.amdhsa_system_sgpr_workgroup_id_y 1
		.amdhsa_system_sgpr_workgroup_id_z 1
		.amdhsa_system_sgpr_workgroup_info 0
		.amdhsa_system_vgpr_workitem_id 0
		.amdhsa_next_free_vgpr 57
		.amdhsa_next_free_sgpr 96
		.amdhsa_accum_offset 60
		.amdhsa_reserve_vcc 1
		.amdhsa_reserve_flat_scratch 0
		.amdhsa_float_round_mode_32 0
		.amdhsa_float_round_mode_16_64 0
		.amdhsa_float_denorm_mode_32 3
		.amdhsa_float_denorm_mode_16_64 3
		.amdhsa_dx10_clamp 1
		.amdhsa_ieee_mode 1
		.amdhsa_fp16_overflow 0
		.amdhsa_tg_split 0
		.amdhsa_exception_fp_ieee_invalid_op 0
		.amdhsa_exception_fp_denorm_src 0
		.amdhsa_exception_fp_ieee_div_zero 0
		.amdhsa_exception_fp_ieee_overflow 0
		.amdhsa_exception_fp_ieee_underflow 0
		.amdhsa_exception_fp_ieee_inexact 0
		.amdhsa_exception_int_div_zero 0
	.end_amdhsa_kernel
	.section	.text._ZN9rocsolver6v33100L25stedcx_mergeValues_kernelIfEEviiPT_lS3_lS3_S3_PiS2_S2_S2_,"axG",@progbits,_ZN9rocsolver6v33100L25stedcx_mergeValues_kernelIfEEviiPT_lS3_lS3_S3_PiS2_S2_S2_,comdat
.Lfunc_end8:
	.size	_ZN9rocsolver6v33100L25stedcx_mergeValues_kernelIfEEviiPT_lS3_lS3_S3_PiS2_S2_S2_, .Lfunc_end8-_ZN9rocsolver6v33100L25stedcx_mergeValues_kernelIfEEviiPT_lS3_lS3_S3_PiS2_S2_S2_
                                        ; -- End function
	.section	.AMDGPU.csdata,"",@progbits
; Kernel info:
; codeLenInByte = 15280
; NumSgprs: 100
; NumVgprs: 57
; NumAgprs: 0
; TotalNumVgprs: 57
; ScratchSize: 0
; MemoryBound: 0
; FloatMode: 240
; IeeeMode: 1
; LDSByteSize: 0 bytes/workgroup (compile time only)
; SGPRBlocks: 12
; VGPRBlocks: 7
; NumSGPRsForWavesPerEU: 100
; NumVGPRsForWavesPerEU: 57
; AccumOffset: 60
; Occupancy: 8
; WaveLimiterHint : 1
; COMPUTE_PGM_RSRC2:SCRATCH_EN: 0
; COMPUTE_PGM_RSRC2:USER_SGPR: 6
; COMPUTE_PGM_RSRC2:TRAP_HANDLER: 0
; COMPUTE_PGM_RSRC2:TGID_X_EN: 1
; COMPUTE_PGM_RSRC2:TGID_Y_EN: 1
; COMPUTE_PGM_RSRC2:TGID_Z_EN: 1
; COMPUTE_PGM_RSRC2:TIDIG_COMP_CNT: 0
; COMPUTE_PGM_RSRC3_GFX90A:ACCUM_OFFSET: 14
; COMPUTE_PGM_RSRC3_GFX90A:TG_SPLIT: 0
	.section	.text._ZN9rocsolver6v33100L26stedcx_mergeVectors_kernelILb0EfEEviiPT0_lS3_lS3_iilS3_S3_Pi,"axG",@progbits,_ZN9rocsolver6v33100L26stedcx_mergeVectors_kernelILb0EfEEviiPT0_lS3_lS3_iilS3_S3_Pi,comdat
	.globl	_ZN9rocsolver6v33100L26stedcx_mergeVectors_kernelILb0EfEEviiPT0_lS3_lS3_iilS3_S3_Pi ; -- Begin function _ZN9rocsolver6v33100L26stedcx_mergeVectors_kernelILb0EfEEviiPT0_lS3_lS3_iilS3_S3_Pi
	.p2align	8
	.type	_ZN9rocsolver6v33100L26stedcx_mergeVectors_kernelILb0EfEEviiPT0_lS3_lS3_iilS3_S3_Pi,@function
_ZN9rocsolver6v33100L26stedcx_mergeVectors_kernelILb0EfEEviiPT0_lS3_lS3_iilS3_S3_Pi: ; @_ZN9rocsolver6v33100L26stedcx_mergeVectors_kernelILb0EfEEviiPT0_lS3_lS3_iilS3_S3_Pi
; %bb.0:
	s_load_dwordx4 s[20:23], s[4:5], 0x28
	s_load_dwordx8 s[12:19], s[4:5], 0x38
	s_mov_b32 s10, s7
	s_waitcnt lgkmcnt(0)
	s_cmp_eq_u64 s[20:21], 0
	s_cbranch_scc1 .LBB9_2
; %bb.1:
	s_ashr_i32 s2, s8, 31
	s_mul_i32 s3, s8, s13
	s_mul_hi_u32 s7, s8, s12
	s_add_i32 s3, s7, s3
	s_mul_i32 s2, s2, s12
	s_add_i32 s3, s3, s2
	s_mul_i32 s2, s8, s12
	s_ashr_i32 s1, s22, 31
	s_lshl_b64 s[2:3], s[2:3], 2
	s_mov_b32 s0, s22
	s_add_u32 s2, s20, s2
	s_addc_u32 s3, s21, s3
	s_lshl_b64 s[0:1], s[0:1], 2
	s_add_u32 s12, s2, s0
	s_addc_u32 s13, s3, s1
	s_branch .LBB9_3
.LBB9_2:
                                        ; implicit-def: $sgpr12_sgpr13
.LBB9_3:
	s_load_dwordx2 s[20:21], s[4:5], 0x0
	s_waitcnt lgkmcnt(0)
	s_mul_i32 s0, s21, 5
	s_add_i32 s0, s0, 2
	s_mul_i32 s0, s0, s8
	s_ashr_i32 s1, s0, 31
	s_lshl_b64 s[2:3], s[0:1], 2
	s_add_u32 s7, s18, s2
	s_addc_u32 s22, s19, s3
	s_ashr_i32 s27, s21, 31
	s_mov_b32 s26, s21
	s_lshl_b64 s[0:1], s[26:27], 2
	s_add_u32 s24, s7, s0
	s_addc_u32 s25, s22, s1
	s_load_dword s33, s[24:25], 0x4
	s_waitcnt lgkmcnt(0)
	s_cmp_ge_i32 s10, s33
	s_cbranch_scc1 .LBB9_60
; %bb.4:
	s_add_u32 s34, s24, s0
	s_addc_u32 s35, s25, s1
	s_add_u32 s36, s34, s0
	s_load_dword s11, s[4:5], 0x64
	s_addc_u32 s37, s35, s1
	s_lshl_b32 s0, s8, 1
	s_mul_i32 s4, s21, s21
	s_mul_i32 s8, s0, s21
	s_mul_i32 s0, s0, s4
	s_ashr_i32 s1, s0, 31
	s_ashr_i32 s9, s8, 31
	s_lshl_b64 s[28:29], s[0:1], 2
	s_add_u32 s38, s16, s28
	s_addc_u32 s39, s17, s29
	s_waitcnt lgkmcnt(0)
	s_and_b32 s40, 0xffff, s11
	s_lshl_b32 s41, 2, s20
	s_not_b32 s42, s20
	s_ashr_i32 s43, s6, 31
	s_abs_i32 s44, s6
	s_add_u32 s45, s36, 8
	s_addc_u32 s46, s37, 0
	s_mul_i32 s31, s26, 12
	s_mul_hi_i32 s30, s26, 12
	s_add_u32 s31, s31, s2
	s_addc_u32 s30, s30, s3
	s_add_u32 s31, s31, s18
	s_addc_u32 s30, s30, s19
	s_mov_b32 s5, 0
	s_add_u32 s47, s31, 8
	s_addc_u32 s48, s30, 0
	s_lshl_b64 s[30:31], s[4:5], 2
	s_add_u32 s4, s28, s30
	s_addc_u32 s28, s29, s31
	s_add_u32 s49, s16, s4
	v_cvt_f32_u32_e32 v6, s41
	s_addc_u32 s50, s17, s28
	s_lshl_b32 s51, s40, 2
	s_lshl_b64 s[8:9], s[8:9], 2
	s_add_u32 s4, s14, s8
	s_addc_u32 s8, s15, s9
	v_mov_b32_e32 v3, s8
	s_lshl_b64 s[8:9], s[26:27], 4
	v_rcp_iflag_f32_e32 v6, v6
	s_add_u32 s2, s8, s2
	v_lshlrev_b32_e32 v4, 2, v0
	s_addc_u32 s3, s9, s3
	v_add_co_u32_e32 v2, vcc, s4, v4
	s_add_u32 s2, s18, s2
	v_addc_co_u32_e32 v3, vcc, 0, v3, vcc
	s_addc_u32 s3, s19, s3
	v_mul_f32_e32 v6, 0x4f7ffffe, v6
	v_add_u32_e32 v1, 0, v4
	v_mov_b32_e32 v5, s3
	v_add_co_u32_e32 v4, vcc, s2, v4
	v_cvt_u32_f32_e32 v6, v6
	v_addc_co_u32_e32 v5, vcc, 0, v5, vcc
	v_add_co_u32_e32 v4, vcc, 8, v4
	v_cmp_eq_u32_e64 s[0:1], 0, v0
	v_addc_co_u32_e32 v5, vcc, 0, v5, vcc
	v_cmp_gt_u16_e64 s[8:9], s11, 1
	s_mov_b32 s52, 0xf800000
	v_mov_b32_e32 v7, 0x260
	v_mov_b32_e32 v8, 0
	;; [unrolled: 1-line block ×3, first 2 shown]
                                        ; implicit-def: $vgpr10
	s_branch .LBB9_6
.LBB9_5:                                ;   in Loop: Header=BB9_6 Depth=1
	s_add_i32 s10, s10, 8
	s_cmp_ge_i32 s10, s33
	s_cbranch_scc1 .LBB9_60
.LBB9_6:                                ; =>This Loop Header: Depth=1
                                        ;     Child Loop BB9_15 Depth 2
                                        ;     Child Loop BB9_22 Depth 2
                                        ;     Child Loop BB9_29 Depth 2
                                        ;     Child Loop BB9_34 Depth 2
                                        ;     Child Loop BB9_39 Depth 2
                                        ;     Child Loop BB9_58 Depth 2
                                        ;     Child Loop BB9_46 Depth 2
                                        ;       Child Loop BB9_48 Depth 3
                                        ;       Child Loop BB9_51 Depth 3
	s_ashr_i32 s11, s10, 31
	s_lshl_b64 s[2:3], s[10:11], 2
	s_add_u32 s2, s7, s2
	s_addc_u32 s3, s22, s3
	s_barrier
	s_load_dwordx2 s[2:3], s[2:3], 0x0
	s_mov_b32 s13, 0
	s_waitcnt lgkmcnt(0)
	s_sub_i32 s3, s3, s2
	s_cmp_lt_i32 s3, 3
	s_cbranch_scc1 .LBB9_11
; %bb.7:                                ;   in Loop: Header=BB9_6 Depth=1
	s_cmp_lt_u32 s3, 5
	s_mov_b32 s13, 1
	s_cbranch_scc1 .LBB9_11
; %bb.8:                                ;   in Loop: Header=BB9_6 Depth=1
	s_cmp_lt_u32 s3, 33
	s_mov_b32 s13, 2
	s_cbranch_scc1 .LBB9_11
; %bb.9:                                ;   in Loop: Header=BB9_6 Depth=1
	s_cmpk_lt_u32 s3, 0xe9
	s_mov_b32 s13, 4
	s_cbranch_scc1 .LBB9_11
; %bb.10:                               ;   in Loop: Header=BB9_6 Depth=1
	s_cmpk_lt_u32 s3, 0x128
	s_cselect_b32 s4, 5, 7
	s_cmpk_lt_u32 s3, 0x79b
	s_cselect_b32 s13, s4, 8
.LBB9_11:                               ;   in Loop: Header=BB9_6 Depth=1
	s_lshl_b32 s4, 1, s13
	v_cvt_f32_u32_e32 v11, s4
	s_add_i32 s3, s3, -1
	s_ashr_i32 s53, s3, 31
	s_add_i32 s3, s3, s53
	v_rcp_iflag_f32_e32 v11, v11
	s_sub_i32 s11, 0, s4
	s_xor_b32 s54, s3, s53
	v_mul_f32_e32 v11, 0x4f7ffffe, v11
	v_cvt_u32_f32_e32 v11, v11
	v_readfirstlane_b32 s3, v11
	s_mul_i32 s11, s11, s3
	s_mul_hi_u32 s11, s3, s11
	s_add_i32 s3, s3, s11
	s_mul_hi_u32 s3, s54, s3
	s_mul_i32 s14, s3, s4
	s_sub_i32 s14, s54, s14
	s_add_i32 s11, s3, 1
	s_sub_i32 s15, s14, s4
	s_cmp_ge_u32 s14, s4
	s_cselect_b32 s3, s11, s3
	s_cselect_b32 s14, s15, s14
	s_add_i32 s11, s3, 1
	s_cmp_ge_u32 s14, s4
	s_cselect_b32 s3, s11, s3
	s_xor_b32 s3, s3, s53
	s_sub_i32 s56, s3, s53
	s_add_i32 s56, s56, 1
	s_lshl_b32 s3, s56, s13
	s_cmp_ge_i32 s6, s3
	s_cselect_b64 s[14:15], -1, 0
	s_cmp_le_i32 s13, s20
	s_cselect_b64 s[16:17], -1, 0
	s_or_b64 s[14:15], s[16:17], s[14:15]
	s_and_b64 vcc, exec, s[14:15]
	s_cbranch_vccnz .LBB9_5
; %bb.12:                               ;   in Loop: Header=BB9_6 Depth=1
	s_ashr_i32 s3, s2, 31
	s_lshl_b64 s[2:3], s[2:3], 2
	s_add_u32 s4, s24, s2
	s_addc_u32 s55, s25, s3
	s_add_u32 s11, s34, s2
	s_addc_u32 s26, s35, s3
	s_abs_i32 s2, s56
	v_cvt_f32_u32_e32 v11, s2
	s_sub_i32 s15, 0, s2
	s_ashr_i32 s3, s56, 31
	s_xor_b32 s3, s43, s3
	v_rcp_iflag_f32_e32 v11, v11
	v_readfirstlane_b32 s14, v6
	v_mul_f32_e32 v11, 0x4f7ffffe, v11
	v_cvt_u32_f32_e32 v11, v11
	v_readfirstlane_b32 s16, v11
	s_mul_i32 s15, s15, s16
	s_mul_hi_u32 s15, s16, s15
	s_add_i32 s16, s16, s15
	s_mul_hi_u32 s15, s44, s16
	s_mul_i32 s16, s15, s2
	s_sub_i32 s16, s44, s16
	s_add_i32 s17, s15, 1
	s_sub_i32 s18, s16, s2
	s_cmp_ge_u32 s16, s2
	s_cselect_b32 s15, s17, s15
	s_cselect_b32 s16, s18, s16
	s_add_i32 s17, s15, 1
	s_cmp_ge_u32 s16, s2
	s_cselect_b32 s2, s17, s15
	s_xor_b32 s2, s2, s3
	s_sub_i32 s2, s2, s3
	s_ashr_i32 s3, s2, 31
	s_lshl_b64 s[16:17], s[2:3], 2
	s_add_u32 s18, s11, s16
	s_addc_u32 s19, s26, s17
	s_sub_i32 s27, 0, s41
	s_mul_i32 s27, s27, s14
	s_add_i32 s15, s2, s3
	s_mul_hi_u32 s27, s14, s27
	s_xor_b32 s15, s15, s3
	s_add_i32 s14, s14, s27
	s_mul_hi_u32 s14, s15, s14
	s_mul_i32 s14, s14, s41
	s_sub_i32 s14, s15, s14
	s_sub_i32 s15, s14, s41
	s_cmp_ge_u32 s14, s41
	s_cselect_b32 s14, s15, s14
	s_sub_i32 s15, s14, s41
	s_cmp_ge_u32 s14, s41
	s_cselect_b32 s14, s15, s14
	s_xor_b32 s14, s14, s3
	s_sub_i32 s3, s14, s3
	s_sub_i32 s28, s2, s3
	s_ashr_i32 s29, s28, 31
	s_lshl_b64 s[14:15], s[28:29], 2
	s_add_u32 s14, s11, s14
	s_addc_u32 s15, s26, s15
	s_add_u32 s26, s4, s16
	s_addc_u32 s27, s55, s17
	s_load_dword s11, s[26:27], 0x8
	s_add_u32 s16, s26, 8
	s_addc_u32 s17, s27, 0
	s_cmp_lt_i32 s3, 1
	s_cbranch_scc1 .LBB9_19
; %bb.13:                               ;   in Loop: Header=BB9_6 Depth=1
	s_mov_b64 s[30:31], -1
	s_cmp_eq_u32 s3, 1
	s_mov_b32 s29, 1
	s_cbranch_scc1 .LBB9_17
; %bb.14:                               ;   in Loop: Header=BB9_6 Depth=1
	s_and_b32 s30, s3, 0x7ffffffe
	s_add_u32 s57, s4, 8
	s_addc_u32 s58, s55, 0
	s_mov_b32 s31, 0
	s_mov_b32 s59, s30
.LBB9_15:                               ;   Parent Loop BB9_6 Depth=1
                                        ; =>  This Inner Loop Header: Depth=2
	s_ashr_i32 s29, s28, 31
	s_lshl_b64 s[60:61], s[28:29], 2
	s_add_u32 s60, s57, s60
	s_addc_u32 s61, s58, s61
	s_load_dwordx2 s[60:61], s[60:61], 0x0
	s_add_i32 s28, s28, 2
	s_add_i32 s59, s59, -2
	s_waitcnt lgkmcnt(0)
	s_add_i32 s31, s61, s31
	s_add_i32 s11, s60, s11
	s_cmp_lg_u32 s59, 0
	s_cbranch_scc1 .LBB9_15
; %bb.16:                               ;   in Loop: Header=BB9_6 Depth=1
	s_and_b32 s29, s3, 1
	s_add_i32 s11, s11, s31
	s_cmp_lg_u32 s3, s30
	s_cselect_b64 s[30:31], -1, 0
.LBB9_17:                               ;   in Loop: Header=BB9_6 Depth=1
	s_and_b64 vcc, exec, s[30:31]
	s_cbranch_vccz .LBB9_19
; %bb.18:                               ;   in Loop: Header=BB9_6 Depth=1
	s_sub_i32 s28, s2, s29
	s_ashr_i32 s29, s28, 31
	s_lshl_b64 s[28:29], s[28:29], 2
	s_add_u32 s28, s4, s28
	s_addc_u32 s29, s55, s29
	s_load_dword s4, s[28:29], 0x8
	s_waitcnt lgkmcnt(0)
	s_add_i32 s11, s4, s11
.LBB9_19:                               ;   in Loop: Header=BB9_6 Depth=1
	s_not_b32 s4, s3
	s_add_i32 s28, s41, s4
	s_cmp_lt_i32 s28, 1
	s_cbranch_scc1 .LBB9_26
; %bb.20:                               ;   in Loop: Header=BB9_6 Depth=1
	s_mov_b64 s[30:31], -1
	s_cmp_eq_u32 s28, 1
	s_mov_b32 s3, 1
	s_cbranch_scc1 .LBB9_24
; %bb.21:                               ;   in Loop: Header=BB9_6 Depth=1
	s_and_b32 s3, s4, 1
	s_add_u32 s4, s16, -4
	s_addc_u32 s31, s17, -1
	s_mov_b32 s30, 0
.LBB9_22:                               ;   Parent Loop BB9_6 Depth=1
                                        ; =>  This Inner Loop Header: Depth=2
	s_ashr_i32 s29, s28, 31
	s_lshl_b64 s[58:59], s[28:29], 2
	s_add_u32 s58, s4, s58
	s_addc_u32 s59, s31, s59
	s_load_dwordx2 s[58:59], s[58:59], 0x0
	s_add_i32 s28, s28, -2
	s_waitcnt lgkmcnt(0)
	s_add_i32 s30, s58, s30
	s_add_i32 s11, s59, s11
	s_cmp_lg_u32 s3, s28
	s_cbranch_scc1 .LBB9_22
; %bb.23:                               ;   in Loop: Header=BB9_6 Depth=1
	s_add_i32 s11, s11, s30
	s_cmp_lg_u32 s3, 0
	s_cselect_b64 s[30:31], -1, 0
.LBB9_24:                               ;   in Loop: Header=BB9_6 Depth=1
	s_and_b64 vcc, exec, s[30:31]
	s_cbranch_vccz .LBB9_26
; %bb.25:                               ;   in Loop: Header=BB9_6 Depth=1
	s_lshl_b32 s3, s3, 2
	s_load_dword s3, s[26:27], s3 offset:0x8
	s_waitcnt lgkmcnt(0)
	s_add_i32 s11, s3, s11
.LBB9_26:                               ;   in Loop: Header=BB9_6 Depth=1
	s_load_dword s14, s[14:15], 0x8
	s_nop 0
	s_load_dword s3, s[18:19], 0x8
	s_waitcnt lgkmcnt(0)
	s_ashr_i32 s15, s14, 31
	s_cmp_lt_i32 s11, 1
	s_cbranch_scc1 .LBB9_31
; %bb.27:                               ;   in Loop: Header=BB9_6 Depth=1
	s_cmp_lg_u32 s11, 1
	s_cbranch_scc0 .LBB9_32
; %bb.28:                               ;   in Loop: Header=BB9_6 Depth=1
	s_lshl_b64 s[18:19], s[14:15], 2
	s_add_u32 s18, s36, s18
	s_addc_u32 s19, s37, s19
	s_and_b32 s4, s11, 0x7ffffffe
	s_add_u32 s18, s18, 8
	s_addc_u32 s19, s19, 0
	s_mov_b32 s26, 0
	s_mov_b32 s27, s4
	;; [unrolled: 1-line block ×3, first 2 shown]
.LBB9_29:                               ;   Parent Loop BB9_6 Depth=1
                                        ; =>  This Inner Loop Header: Depth=2
	s_load_dwordx2 s[30:31], s[18:19], 0x0
	s_waitcnt lgkmcnt(0)
	s_cmp_eq_u32 s30, 1
	s_cselect_b64 s[58:59], -1, 0
	s_cmp_eq_u32 s31, 1
	s_cselect_b64 s[30:31], -1, 0
	s_cmp_lg_u64 s[30:31], 0
	s_addc_u32 s28, s28, 0
	s_cmp_lg_u64 s[58:59], 0
	s_addc_u32 s26, s26, 0
	s_add_u32 s18, s18, 8
	s_addc_u32 s19, s19, 0
	s_add_i32 s27, s27, -2
	s_cmp_lg_u32 s27, 0
	s_cbranch_scc1 .LBB9_29
; %bb.30:                               ;   in Loop: Header=BB9_6 Depth=1
	s_add_i32 s55, s26, s28
	s_cmp_lg_u32 s11, s4
	s_cselect_b64 s[18:19], -1, 0
	s_and_b64 vcc, exec, s[18:19]
	s_cbranch_vccnz .LBB9_33
	s_branch .LBB9_35
.LBB9_31:                               ;   in Loop: Header=BB9_6 Depth=1
	s_mov_b32 s55, 0
	s_branch .LBB9_35
.LBB9_32:                               ;   in Loop: Header=BB9_6 Depth=1
	s_mov_b32 s55, 0
	s_mov_b32 s4, 0
	s_cbranch_execz .LBB9_35
.LBB9_33:                               ;   in Loop: Header=BB9_6 Depth=1
	s_sub_i32 s26, s11, s4
	s_lshl_b64 s[18:19], s[14:15], 2
	s_lshl_b64 s[28:29], s[4:5], 2
	s_add_u32 s4, s18, s28
	s_addc_u32 s19, s19, s29
	s_add_u32 s18, s47, s4
	s_addc_u32 s19, s48, s19
.LBB9_34:                               ;   Parent Loop BB9_6 Depth=1
                                        ; =>  This Inner Loop Header: Depth=2
	s_load_dword s4, s[18:19], 0x0
	s_waitcnt lgkmcnt(0)
	s_cmp_eq_u32 s4, 1
	s_cselect_b64 s[28:29], -1, 0
	s_cmp_lg_u64 s[28:29], 0
	s_addc_u32 s55, s55, 0
	s_add_i32 s26, s26, -1
	s_add_u32 s18, s18, 4
	s_addc_u32 s19, s19, 0
	s_cmp_eq_u32 s26, 0
	s_cbranch_scc0 .LBB9_34
.LBB9_35:                               ;   in Loop: Header=BB9_6 Depth=1
	s_barrier
	s_load_dword s4, s[16:17], 0x0
	s_mul_i32 s2, s2, s56
	s_sub_i32 s2, s6, s2
	s_waitcnt lgkmcnt(0)
	s_cmp_lt_i32 s2, s4
	s_cbranch_scc0 .LBB9_5
; %bb.36:                               ;   in Loop: Header=BB9_6 Depth=1
	s_add_i32 s16, s2, s3
	s_ashr_i32 s17, s16, 31
	s_lshl_b64 s[2:3], s[16:17], 2
	s_add_u32 s18, s45, s2
	s_addc_u32 s19, s46, s3
	s_load_dword s17, s[18:19], 0x0
	v_cmp_gt_i32_e32 vcc, s55, v0
	s_waitcnt lgkmcnt(0)
	s_cmp_lg_u32 s17, 1
	s_cbranch_scc1 .LBB9_43
; %bb.37:                               ;   in Loop: Header=BB9_6 Depth=1
	v_mov_b32_e32 v10, 0
	s_and_saveexec_b64 s[26:27], vcc
	s_cbranch_execz .LBB9_41
; %bb.38:                               ;   in Loop: Header=BB9_6 Depth=1
	s_mul_i32 s2, s16, s21
	v_add_u32_e32 v10, s2, v0
	v_ashrrev_i32_e32 v11, 31, v10
	v_lshlrev_b64 v[12:13], 2, v[10:11]
	v_mov_b32_e32 v10, s50
	v_add_co_u32_e32 v11, vcc, s49, v12
	v_addc_co_u32_e32 v12, vcc, v10, v13, vcc
	s_lshl_b64 s[2:3], s[14:15], 2
	v_mov_b32_e32 v10, s3
	v_add_co_u32_e32 v13, vcc, s2, v2
	v_addc_co_u32_e32 v14, vcc, v3, v10, vcc
	s_mov_b64 s[28:29], 0
	v_mov_b32_e32 v10, 0
	s_mov_b64 s[30:31], 0
	v_mov_b32_e32 v15, v0
.LBB9_39:                               ;   Parent Loop BB9_6 Depth=1
                                        ; =>  This Inner Loop Header: Depth=2
	v_mov_b32_e32 v17, s31
	v_add_co_u32_e64 v18, s[2:3], s30, v13
	v_add_co_u32_e32 v16, vcc, s30, v11
	v_addc_co_u32_e64 v19, s[2:3], v14, v17, s[2:3]
	v_addc_co_u32_e32 v17, vcc, v12, v17, vcc
	global_load_dword v18, v[18:19], off
	s_nop 0
	global_load_dword v19, v[16:17], off
	v_add_u32_e32 v15, s40, v15
	s_add_u32 s30, s30, s51
	s_addc_u32 s31, s31, 0
	v_cmp_le_i32_e32 vcc, s55, v15
	s_or_b64 s[28:29], vcc, s[28:29]
	s_waitcnt vmcnt(0)
	v_div_scale_f32 v20, s[2:3], v19, v19, v18
	v_rcp_f32_e32 v21, v20
	v_div_scale_f32 v22, vcc, v18, v19, v18
	v_fma_f32 v23, -v20, v21, 1.0
	v_fmac_f32_e32 v21, v23, v21
	v_mul_f32_e32 v23, v22, v21
	v_fma_f32 v24, -v20, v23, v22
	v_fmac_f32_e32 v23, v24, v21
	v_fma_f32 v20, -v20, v23, v22
	v_div_fmas_f32 v20, v20, v21, v23
	v_div_fixup_f32 v18, v20, v19, v18
	v_fmac_f32_e32 v10, v18, v18
	global_store_dword v[16:17], v18, off
	s_andn2_b64 exec, exec, s[28:29]
	s_cbranch_execnz .LBB9_39
; %bb.40:                               ;   in Loop: Header=BB9_6 Depth=1
	s_or_b64 exec, exec, s[28:29]
.LBB9_41:                               ;   in Loop: Header=BB9_6 Depth=1
	s_or_b64 exec, exec, s[26:27]
	s_andn2_b64 vcc, exec, s[8:9]
	s_mov_b32 s4, s40
	ds_write_b32 v1, v10
	s_waitcnt lgkmcnt(0)
	s_barrier
	s_cbranch_vccz .LBB9_58
.LBB9_42:                               ;   in Loop: Header=BB9_6 Depth=1
	ds_read_b32 v10, v8
	s_load_dword s17, s[18:19], 0x0
	s_waitcnt lgkmcnt(0)
	v_mul_f32_e32 v11, 0x4f800000, v10
	v_cmp_gt_f32_e32 vcc, s52, v10
	v_cndmask_b32_e32 v10, v10, v11, vcc
	v_sqrt_f32_e32 v11, v10
	v_add_u32_e32 v12, -1, v11
	v_add_u32_e32 v13, 1, v11
	v_fma_f32 v14, -v12, v11, v10
	v_fma_f32 v15, -v13, v11, v10
	v_cmp_ge_f32_e64 s[2:3], 0, v14
	v_cndmask_b32_e64 v11, v11, v12, s[2:3]
	v_cmp_lt_f32_e64 s[2:3], 0, v15
	v_cndmask_b32_e64 v11, v11, v13, s[2:3]
	v_mul_f32_e32 v12, 0x37800000, v11
	v_cndmask_b32_e32 v11, v11, v12, vcc
	v_cmp_class_f32_e32 vcc, v10, v7
	v_cndmask_b32_e32 v10, v11, v10, vcc
.LBB9_43:                               ;   in Loop: Header=BB9_6 Depth=1
	s_add_i32 s2, s13, s42
	s_lshl_b32 s2, 1, s2
	s_ashr_i32 s3, s2, 31
	s_add_i32 s2, s2, s3
	s_xor_b32 s2, s2, s3
	v_cvt_f32_u32_e32 v11, s2
	s_sub_i32 s4, 0, s2
	v_rcp_iflag_f32_e32 v11, v11
	v_mul_f32_e32 v11, 0x4f7ffffe, v11
	v_cvt_u32_f32_e32 v11, v11
	v_readfirstlane_b32 s13, v11
	s_mul_i32 s4, s4, s13
	s_mul_hi_u32 s4, s13, s4
	s_add_i32 s13, s13, s4
	s_mul_hi_u32 s4, s54, s13
	s_mul_i32 s18, s4, s2
	s_sub_i32 s18, s54, s18
	s_add_i32 s13, s4, 1
	s_sub_i32 s19, s18, s2
	s_cmp_ge_u32 s18, s2
	s_cselect_b32 s4, s13, s4
	s_cselect_b32 s18, s19, s18
	s_add_i32 s13, s4, 1
	s_cmp_ge_u32 s18, s2
	s_cselect_b32 s2, s13, s4
	s_xor_b32 s3, s53, s3
	s_xor_b32 s2, s2, s3
	s_sub_i32 s4, s2, s3
	s_cmp_lg_u32 s17, 1
	s_cselect_b64 s[2:3], -1, 0
	s_cmp_lt_i32 s4, 0
	s_cselect_b64 s[18:19], -1, 0
	s_or_b64 s[2:3], s[2:3], s[18:19]
	s_and_b64 vcc, exec, s[2:3]
	s_cbranch_vccnz .LBB9_5
; %bb.44:                               ;   in Loop: Header=BB9_6 Depth=1
	s_mul_i32 s13, s16, s21
	v_add_u32_e32 v12, s13, v0
	v_ashrrev_i32_e32 v13, 31, v12
	v_lshlrev_b64 v[12:13], 2, v[12:13]
	v_mov_b32_e32 v14, s50
	v_add_co_u32_e32 v11, vcc, s49, v12
	v_addc_co_u32_e32 v12, vcc, v14, v13, vcc
	s_lshl_b64 s[16:17], s[14:15], 2
	v_mov_b32_e32 v14, s17
	v_add_co_u32_e32 v13, vcc, s16, v4
	v_cmp_gt_i32_e64 s[2:3], s55, v0
	v_addc_co_u32_e32 v14, vcc, v5, v14, vcc
	s_mov_b32 s15, 0
	s_branch .LBB9_46
.LBB9_45:                               ;   in Loop: Header=BB9_46 Depth=2
	s_or_b64 exec, exec, s[16:17]
	s_add_i32 s16, s15, 1
	s_cmp_lg_u32 s15, s4
	s_mov_b32 s15, s16
	s_barrier
	s_cbranch_scc0 .LBB9_5
.LBB9_46:                               ;   Parent Loop BB9_6 Depth=1
                                        ; =>  This Loop Header: Depth=2
                                        ;       Child Loop BB9_48 Depth 3
                                        ;       Child Loop BB9_51 Depth 3
	s_add_i32 s30, s15, s14
	s_cmp_lt_i32 s15, s11
	s_cselect_b64 s[16:17], -1, 0
	s_and_b64 s[26:27], s[16:17], s[2:3]
	v_mov_b32_e32 v15, 0
	s_and_saveexec_b64 s[18:19], s[26:27]
	s_cbranch_execz .LBB9_50
; %bb.47:                               ;   in Loop: Header=BB9_46 Depth=2
	s_mov_b64 s[26:27], 0
	v_mov_b32_e32 v15, 0
	s_mov_b64 s[28:29], 0
	v_mov_b32_e32 v16, v0
.LBB9_48:                               ;   Parent Loop BB9_6 Depth=1
                                        ;     Parent Loop BB9_46 Depth=2
                                        ; =>    This Inner Loop Header: Depth=3
	v_mov_b32_e32 v17, s29
	v_add_co_u32_e32 v18, vcc, s28, v13
	v_addc_co_u32_e32 v19, vcc, v14, v17, vcc
	global_load_dword v20, v[18:19], off
	v_add_co_u32_e32 v18, vcc, s28, v11
	v_addc_co_u32_e32 v19, vcc, v12, v17, vcc
	global_load_dword v17, v[18:19], off
	v_add_u32_e32 v16, s40, v16
	s_add_u32 s28, s28, s51
	s_addc_u32 s29, s29, 0
	s_waitcnt vmcnt(1)
	v_add_u32_e32 v18, s14, v20
	v_mul_lo_u32 v18, v18, s23
	v_add_u32_e32 v18, s30, v18
	v_ashrrev_i32_e32 v19, 31, v18
	v_lshlrev_b64 v[18:19], 2, v[18:19]
	v_add_co_u32_e32 v18, vcc, s12, v18
	v_addc_co_u32_e32 v19, vcc, v9, v19, vcc
	flat_load_dword v18, v[18:19]
	v_cmp_le_i32_e32 vcc, s55, v16
	s_or_b64 s[26:27], vcc, s[26:27]
	s_waitcnt vmcnt(0) lgkmcnt(0)
	v_fmac_f32_e32 v15, v18, v17
	s_andn2_b64 exec, exec, s[26:27]
	s_cbranch_execnz .LBB9_48
; %bb.49:                               ;   in Loop: Header=BB9_46 Depth=2
	s_or_b64 exec, exec, s[26:27]
.LBB9_50:                               ;   in Loop: Header=BB9_46 Depth=2
	s_or_b64 exec, exec, s[18:19]
	s_andn2_b64 vcc, exec, s[8:9]
	s_mov_b32 s26, s40
	ds_write_b32 v1, v15
	s_waitcnt lgkmcnt(0)
	s_barrier
	s_cbranch_vccnz .LBB9_55
.LBB9_51:                               ;   Parent Loop BB9_6 Depth=1
                                        ;     Parent Loop BB9_46 Depth=2
                                        ; =>    This Inner Loop Header: Depth=3
	s_lshr_b32 s27, s26, 1
	v_cmp_gt_u32_e32 vcc, s27, v0
	s_and_b64 s[28:29], s[16:17], vcc
	s_and_saveexec_b64 s[18:19], s[28:29]
	s_cbranch_execz .LBB9_53
; %bb.52:                               ;   in Loop: Header=BB9_51 Depth=3
	v_lshl_add_u32 v16, s27, 2, v1
	ds_read_b32 v16, v16
	s_waitcnt lgkmcnt(0)
	v_add_f32_e32 v15, v15, v16
	ds_write_b32 v1, v15
.LBB9_53:                               ;   in Loop: Header=BB9_51 Depth=3
	s_or_b64 exec, exec, s[18:19]
	s_cmp_lt_u32 s26, 4
	s_waitcnt lgkmcnt(0)
	s_barrier
	s_cbranch_scc1 .LBB9_55
; %bb.54:                               ;   in Loop: Header=BB9_51 Depth=3
	s_mov_b32 s26, s27
	s_branch .LBB9_51
.LBB9_55:                               ;   in Loop: Header=BB9_46 Depth=2
	s_and_b64 s[18:19], s[0:1], s[16:17]
	s_and_saveexec_b64 s[16:17], s[18:19]
	s_cbranch_execz .LBB9_45
; %bb.56:                               ;   in Loop: Header=BB9_46 Depth=2
	v_div_scale_f32 v16, s[18:19], v10, v10, v15
	v_rcp_f32_e32 v17, v16
	v_div_scale_f32 v18, vcc, v15, v10, v15
	s_add_i32 s18, s30, s13
	v_fma_f32 v19, -v16, v17, 1.0
	v_fmac_f32_e32 v17, v19, v17
	v_mul_f32_e32 v19, v18, v17
	v_fma_f32 v20, -v16, v19, v18
	v_fmac_f32_e32 v19, v20, v17
	s_ashr_i32 s19, s18, 31
	v_fma_f32 v16, -v16, v19, v18
	s_lshl_b64 s[18:19], s[18:19], 2
	v_div_fmas_f32 v16, v16, v17, v19
	s_add_u32 s18, s38, s18
	v_div_fixup_f32 v15, v16, v10, v15
	s_addc_u32 s19, s39, s19
	global_store_dword v8, v15, s[18:19]
	s_branch .LBB9_45
.LBB9_57:                               ;   in Loop: Header=BB9_58 Depth=2
	s_or_b64 exec, exec, s[2:3]
	s_cmp_lt_u32 s4, 4
	s_mov_b32 s4, s17
	s_waitcnt lgkmcnt(0)
	s_barrier
	s_cbranch_scc1 .LBB9_42
.LBB9_58:                               ;   Parent Loop BB9_6 Depth=1
                                        ; =>  This Inner Loop Header: Depth=2
	s_lshr_b32 s17, s4, 1
	v_cmp_gt_u32_e32 vcc, s17, v0
	s_and_saveexec_b64 s[2:3], vcc
	s_cbranch_execz .LBB9_57
; %bb.59:                               ;   in Loop: Header=BB9_58 Depth=2
	v_lshl_add_u32 v11, s17, 2, v1
	ds_read_b32 v11, v11
	s_waitcnt lgkmcnt(0)
	v_add_f32_e32 v10, v10, v11
	ds_write_b32 v1, v10
	s_branch .LBB9_57
.LBB9_60:
	s_endpgm
	.section	.rodata,"a",@progbits
	.p2align	6, 0x0
	.amdhsa_kernel _ZN9rocsolver6v33100L26stedcx_mergeVectors_kernelILb0EfEEviiPT0_lS3_lS3_iilS3_S3_Pi
		.amdhsa_group_segment_fixed_size 0
		.amdhsa_private_segment_fixed_size 0
		.amdhsa_kernarg_size 344
		.amdhsa_user_sgpr_count 6
		.amdhsa_user_sgpr_private_segment_buffer 1
		.amdhsa_user_sgpr_dispatch_ptr 0
		.amdhsa_user_sgpr_queue_ptr 0
		.amdhsa_user_sgpr_kernarg_segment_ptr 1
		.amdhsa_user_sgpr_dispatch_id 0
		.amdhsa_user_sgpr_flat_scratch_init 0
		.amdhsa_user_sgpr_kernarg_preload_length 0
		.amdhsa_user_sgpr_kernarg_preload_offset 0
		.amdhsa_user_sgpr_private_segment_size 0
		.amdhsa_uses_dynamic_stack 0
		.amdhsa_system_sgpr_private_segment_wavefront_offset 0
		.amdhsa_system_sgpr_workgroup_id_x 1
		.amdhsa_system_sgpr_workgroup_id_y 1
		.amdhsa_system_sgpr_workgroup_id_z 1
		.amdhsa_system_sgpr_workgroup_info 0
		.amdhsa_system_vgpr_workitem_id 0
		.amdhsa_next_free_vgpr 25
		.amdhsa_next_free_sgpr 62
		.amdhsa_accum_offset 28
		.amdhsa_reserve_vcc 1
		.amdhsa_reserve_flat_scratch 0
		.amdhsa_float_round_mode_32 0
		.amdhsa_float_round_mode_16_64 0
		.amdhsa_float_denorm_mode_32 3
		.amdhsa_float_denorm_mode_16_64 3
		.amdhsa_dx10_clamp 1
		.amdhsa_ieee_mode 1
		.amdhsa_fp16_overflow 0
		.amdhsa_tg_split 0
		.amdhsa_exception_fp_ieee_invalid_op 0
		.amdhsa_exception_fp_denorm_src 0
		.amdhsa_exception_fp_ieee_div_zero 0
		.amdhsa_exception_fp_ieee_overflow 0
		.amdhsa_exception_fp_ieee_underflow 0
		.amdhsa_exception_fp_ieee_inexact 0
		.amdhsa_exception_int_div_zero 0
	.end_amdhsa_kernel
	.section	.text._ZN9rocsolver6v33100L26stedcx_mergeVectors_kernelILb0EfEEviiPT0_lS3_lS3_iilS3_S3_Pi,"axG",@progbits,_ZN9rocsolver6v33100L26stedcx_mergeVectors_kernelILb0EfEEviiPT0_lS3_lS3_iilS3_S3_Pi,comdat
.Lfunc_end9:
	.size	_ZN9rocsolver6v33100L26stedcx_mergeVectors_kernelILb0EfEEviiPT0_lS3_lS3_iilS3_S3_Pi, .Lfunc_end9-_ZN9rocsolver6v33100L26stedcx_mergeVectors_kernelILb0EfEEviiPT0_lS3_lS3_iilS3_S3_Pi
                                        ; -- End function
	.section	.AMDGPU.csdata,"",@progbits
; Kernel info:
; codeLenInByte = 2728
; NumSgprs: 66
; NumVgprs: 25
; NumAgprs: 0
; TotalNumVgprs: 25
; ScratchSize: 0
; MemoryBound: 0
; FloatMode: 240
; IeeeMode: 1
; LDSByteSize: 0 bytes/workgroup (compile time only)
; SGPRBlocks: 8
; VGPRBlocks: 3
; NumSGPRsForWavesPerEU: 66
; NumVGPRsForWavesPerEU: 25
; AccumOffset: 28
; Occupancy: 8
; WaveLimiterHint : 1
; COMPUTE_PGM_RSRC2:SCRATCH_EN: 0
; COMPUTE_PGM_RSRC2:USER_SGPR: 6
; COMPUTE_PGM_RSRC2:TRAP_HANDLER: 0
; COMPUTE_PGM_RSRC2:TGID_X_EN: 1
; COMPUTE_PGM_RSRC2:TGID_Y_EN: 1
; COMPUTE_PGM_RSRC2:TGID_Z_EN: 1
; COMPUTE_PGM_RSRC2:TIDIG_COMP_CNT: 0
; COMPUTE_PGM_RSRC3_GFX90A:ACCUM_OFFSET: 6
; COMPUTE_PGM_RSRC3_GFX90A:TG_SPLIT: 0
	.section	.text._ZN9rocsolver6v33100L25stedcx_mergeUpdate_kernelIfEEviiPT_lS3_iilS3_S3_Pi,"axG",@progbits,_ZN9rocsolver6v33100L25stedcx_mergeUpdate_kernelIfEEviiPT_lS3_iilS3_S3_Pi,comdat
	.globl	_ZN9rocsolver6v33100L25stedcx_mergeUpdate_kernelIfEEviiPT_lS3_iilS3_S3_Pi ; -- Begin function _ZN9rocsolver6v33100L25stedcx_mergeUpdate_kernelIfEEviiPT_lS3_iilS3_S3_Pi
	.p2align	8
	.type	_ZN9rocsolver6v33100L25stedcx_mergeUpdate_kernelIfEEviiPT_lS3_iilS3_S3_Pi,@function
_ZN9rocsolver6v33100L25stedcx_mergeUpdate_kernelIfEEviiPT_lS3_iilS3_S3_Pi: ; @_ZN9rocsolver6v33100L25stedcx_mergeUpdate_kernelIfEEviiPT_lS3_iilS3_S3_Pi
; %bb.0:
	s_load_dwordx4 s[0:3], s[4:5], 0x18
	s_load_dwordx8 s[12:19], s[4:5], 0x28
	s_mov_b32 s10, s7
	s_mov_b64 s[20:21], 0
	s_waitcnt lgkmcnt(0)
	s_cmp_lg_u64 s[0:1], 0
	s_cbranch_scc0 .LBB10_35
; %bb.1:
	s_ashr_i32 s25, s2, 31
	s_mov_b32 s24, s2
	s_ashr_i32 s23, s8, 31
	s_mul_i32 s2, s8, s13
	s_mul_hi_u32 s7, s8, s12
	s_add_i32 s2, s7, s2
	s_mul_i32 s7, s23, s12
	s_add_i32 s13, s2, s7
	s_mul_i32 s12, s8, s12
	s_lshl_b64 s[12:13], s[12:13], 2
	s_add_u32 s2, s0, s12
	s_addc_u32 s7, s1, s13
	s_lshl_b64 s[0:1], s[24:25], 2
	s_add_u32 s12, s2, s0
	s_addc_u32 s13, s7, s1
	s_andn2_b64 vcc, exec, s[20:21]
	s_cbranch_vccnz .LBB10_3
.LBB10_2:
	s_ashr_i32 s23, s8, 31
                                        ; implicit-def: $sgpr12_sgpr13
.LBB10_3:
	s_load_dwordx2 s[20:21], s[4:5], 0x0
	s_waitcnt lgkmcnt(0)
	s_mul_i32 s0, s21, 5
	s_add_i32 s0, s0, 2
	s_mul_i32 s0, s0, s8
	s_ashr_i32 s1, s0, 31
	s_lshl_b64 s[0:1], s[0:1], 2
	s_add_u32 s2, s18, s0
	s_addc_u32 s7, s19, s1
	s_ashr_i32 s1, s21, 31
	s_mov_b32 s0, s21
	s_lshl_b64 s[0:1], s[0:1], 2
	s_add_u32 s18, s2, s0
	s_addc_u32 s19, s7, s1
	s_load_dword s22, s[18:19], 0x4
	s_waitcnt lgkmcnt(0)
	s_cmp_ge_i32 s10, s22
	s_cbranch_scc1 .LBB10_34
; %bb.4:
	s_load_dwordx4 s[24:27], s[4:5], 0x8
	s_load_dword s11, s[4:5], 0x54
	v_mov_b32_e32 v2, 0
	s_waitcnt lgkmcnt(0)
	s_mul_i32 s5, s8, s27
	s_mul_hi_u32 s9, s8, s26
	s_mul_i32 s23, s23, s26
	s_add_i32 s5, s9, s5
	s_mul_i32 s4, s8, s26
	s_add_i32 s5, s5, s23
	s_lshl_b64 s[4:5], s[4:5], 2
	s_add_u32 s23, s24, s4
	s_addc_u32 s24, s25, s5
	s_add_u32 s25, s18, s0
	s_addc_u32 s26, s19, s1
	s_add_u32 s34, s25, s0
	s_mul_i32 s4, s8, s21
	s_addc_u32 s35, s26, s1
	s_lshl_b32 s4, s4, 1
	s_ashr_i32 s5, s4, 31
	s_lshl_b64 s[8:9], s[4:5], 2
	s_add_u32 s5, s14, s8
	s_addc_u32 s8, s15, s9
	s_add_u32 s27, s5, s0
	s_addc_u32 s28, s8, s1
	s_lshl_b32 s30, 2, s20
	v_cvt_f32_u32_e32 v1, s30
	s_mul_i32 s4, s4, s21
	s_ashr_i32 s5, s4, 31
	s_and_b32 s29, 0xffff, s11
	v_rcp_iflag_f32_e32 v1, v1
	s_ashr_i32 s31, s6, 31
	s_abs_i32 s33, s6
	s_add_u32 s34, s34, 8
	v_mul_f32_e32 v1, 0x4f7ffffe, v1
	v_cvt_u32_f32_e32 v1, v1
	s_addc_u32 s35, s35, 0
	s_lshl_b32 s36, s29, 2
	s_lshl_b64 s[4:5], s[4:5], 2
	s_add_u32 s16, s16, s4
	v_cmp_eq_u32_e64 s[0:1], 0, v0
	s_addc_u32 s17, s17, s5
	s_branch .LBB10_7
.LBB10_5:                               ;   in Loop: Header=BB10_7 Depth=1
	s_or_b64 exec, exec, s[4:5]
.LBB10_6:                               ;   in Loop: Header=BB10_7 Depth=1
	s_add_i32 s10, s10, 8
	s_cmp_ge_i32 s10, s22
	s_cbranch_scc1 .LBB10_34
.LBB10_7:                               ; =>This Loop Header: Depth=1
                                        ;     Child Loop BB10_16 Depth 2
                                        ;     Child Loop BB10_23 Depth 2
	;; [unrolled: 1-line block ×3, first 2 shown]
	s_ashr_i32 s11, s10, 31
	s_lshl_b64 s[4:5], s[10:11], 2
	s_add_u32 s4, s2, s4
	s_addc_u32 s5, s7, s5
	s_barrier
	global_load_dwordx2 v[4:5], v2, s[4:5]
	s_waitcnt vmcnt(0)
	v_readfirstlane_b32 s4, v4
	v_readfirstlane_b32 s5, v5
	s_sub_i32 s8, s5, s4
	s_cmp_lt_i32 s8, 3
	s_mov_b32 s5, 0
	s_cbranch_scc1 .LBB10_12
; %bb.8:                                ;   in Loop: Header=BB10_7 Depth=1
	s_cmp_lt_u32 s8, 5
	s_mov_b32 s5, 1
	s_cbranch_scc1 .LBB10_12
; %bb.9:                                ;   in Loop: Header=BB10_7 Depth=1
	s_cmp_lt_u32 s8, 33
	s_mov_b32 s5, 2
	s_cbranch_scc1 .LBB10_12
; %bb.10:                               ;   in Loop: Header=BB10_7 Depth=1
	s_cmpk_lt_u32 s8, 0xe9
	s_mov_b32 s5, 4
	s_cbranch_scc1 .LBB10_12
; %bb.11:                               ;   in Loop: Header=BB10_7 Depth=1
	s_cmpk_lt_u32 s8, 0x128
	s_cselect_b32 s5, 5, 7
	s_cmpk_lt_u32 s8, 0x79b
	s_cselect_b32 s5, s5, 8
.LBB10_12:                              ;   in Loop: Header=BB10_7 Depth=1
	s_lshl_b32 s9, 1, s5
	v_cvt_f32_u32_e32 v3, s9
	s_add_i32 s8, s8, -1
	s_sub_i32 s14, 0, s9
	s_ashr_i32 s11, s8, 31
	v_rcp_iflag_f32_e32 v3, v3
	s_add_i32 s8, s8, s11
	s_xor_b32 s8, s8, s11
	v_mul_f32_e32 v3, 0x4f7ffffe, v3
	v_cvt_u32_f32_e32 v3, v3
	v_readfirstlane_b32 s15, v3
	s_mul_i32 s14, s14, s15
	s_mul_hi_u32 s14, s15, s14
	s_add_i32 s15, s15, s14
	s_mul_hi_u32 s14, s8, s15
	s_mul_i32 s37, s14, s9
	s_sub_i32 s8, s8, s37
	s_add_i32 s15, s14, 1
	s_sub_i32 s37, s8, s9
	s_cmp_ge_u32 s8, s9
	s_cselect_b32 s14, s15, s14
	s_cselect_b32 s8, s37, s8
	s_add_i32 s15, s14, 1
	s_cmp_ge_u32 s8, s9
	s_cselect_b32 s8, s15, s14
	s_xor_b32 s8, s8, s11
	s_sub_i32 s11, s8, s11
	s_add_i32 s11, s11, 1
	s_lshl_b32 s8, s11, s5
	s_cmp_ge_i32 s6, s8
	s_cselect_b64 s[8:9], -1, 0
	s_cmp_le_i32 s5, s20
	s_cselect_b64 s[14:15], -1, 0
	s_or_b64 s[8:9], s[14:15], s[8:9]
	s_and_b64 vcc, exec, s[8:9]
	s_cbranch_vccnz .LBB10_6
; %bb.13:                               ;   in Loop: Header=BB10_7 Depth=1
	s_ashr_i32 s5, s4, 31
	s_lshl_b64 s[4:5], s[4:5], 2
	s_add_u32 s37, s18, s4
	s_addc_u32 s38, s19, s5
	s_add_u32 s44, s25, s4
	s_addc_u32 s45, s26, s5
	s_abs_i32 s4, s11
	v_cvt_f32_u32_e32 v3, s4
	s_sub_i32 s8, 0, s4
	s_ashr_i32 s5, s11, 31
	s_xor_b32 s5, s31, s5
	v_rcp_iflag_f32_e32 v3, v3
	v_readfirstlane_b32 s14, v1
	v_mul_f32_e32 v3, 0x4f7ffffe, v3
	v_cvt_u32_f32_e32 v3, v3
	v_readfirstlane_b32 s9, v3
	s_mul_i32 s8, s8, s9
	s_mul_hi_u32 s8, s9, s8
	s_add_i32 s9, s9, s8
	s_mul_hi_u32 s8, s33, s9
	s_mul_i32 s9, s8, s4
	s_sub_i32 s9, s33, s9
	s_add_i32 s15, s8, 1
	s_sub_i32 s39, s9, s4
	s_cmp_ge_u32 s9, s4
	s_cselect_b32 s8, s15, s8
	s_cselect_b32 s9, s39, s9
	s_add_i32 s15, s8, 1
	s_cmp_ge_u32 s9, s4
	s_cselect_b32 s4, s15, s8
	s_xor_b32 s4, s4, s5
	s_sub_i32 s4, s4, s5
	s_ashr_i32 s5, s4, 31
	s_lshl_b64 s[8:9], s[4:5], 2
	s_add_u32 s40, s44, s8
	s_addc_u32 s41, s45, s9
	s_sub_i32 s39, 0, s30
	s_mul_i32 s39, s39, s14
	s_add_i32 s15, s4, s5
	s_mul_hi_u32 s39, s14, s39
	s_xor_b32 s15, s15, s5
	s_add_i32 s14, s14, s39
	s_mul_hi_u32 s14, s15, s14
	s_mul_i32 s14, s14, s30
	s_sub_i32 s14, s15, s14
	s_sub_i32 s15, s14, s30
	s_cmp_ge_u32 s14, s30
	s_cselect_b32 s14, s15, s14
	s_sub_i32 s15, s14, s30
	s_cmp_ge_u32 s14, s30
	s_cselect_b32 s14, s15, s14
	s_xor_b32 s14, s14, s5
	s_sub_i32 s39, s14, s5
	s_sub_i32 s14, s4, s39
	s_ashr_i32 s15, s14, 31
	s_lshl_b64 s[42:43], s[14:15], 2
	s_add_u32 s42, s44, s42
	s_addc_u32 s43, s45, s43
	s_add_u32 s8, s37, s8
	s_addc_u32 s9, s38, s9
	global_load_dword v5, v2, s[40:41] offset:8
	global_load_dword v3, v2, s[42:43] offset:8
	;; [unrolled: 1-line block ×3, first 2 shown]
	s_add_u32 s40, s8, 8
	s_addc_u32 s41, s9, 0
	s_cmp_lt_i32 s39, 1
	s_waitcnt vmcnt(0)
	v_readfirstlane_b32 s5, v5
	s_waitcnt vmcnt(0)
	v_mov_b32_e32 v5, v4
	s_cbranch_scc1 .LBB10_20
; %bb.14:                               ;   in Loop: Header=BB10_7 Depth=1
	s_cmp_eq_u32 s39, 1
	s_mov_b32 s43, 1
	s_cbranch_scc1 .LBB10_18
; %bb.15:                               ;   in Loop: Header=BB10_7 Depth=1
	s_and_b32 s42, s39, 0x7ffffffe
	s_add_u32 s43, s37, 8
	s_addc_u32 s44, s38, 0
	v_mov_b32_e32 v5, 0
	s_mov_b32 s45, s42
	v_mov_b32_e32 v6, v4
.LBB10_16:                              ;   Parent Loop BB10_7 Depth=1
                                        ; =>  This Inner Loop Header: Depth=2
	s_ashr_i32 s15, s14, 31
	s_lshl_b64 s[46:47], s[14:15], 2
	s_add_u32 s46, s43, s46
	s_addc_u32 s47, s44, s47
	global_load_dwordx2 v[8:9], v2, s[46:47]
	s_add_i32 s14, s14, 2
	s_add_i32 s45, s45, -2
	s_cmp_lg_u32 s45, 0
	s_waitcnt vmcnt(0)
	v_add_u32_e32 v5, v9, v5
	v_add_u32_e32 v6, v8, v6
	s_cbranch_scc1 .LBB10_16
; %bb.17:                               ;   in Loop: Header=BB10_7 Depth=1
	s_and_b32 s43, s39, 1
	s_cmp_lg_u32 s39, s42
	v_add_u32_e32 v5, v6, v5
	s_cselect_b64 s[14:15], -1, 0
	s_and_b64 vcc, exec, s[14:15]
	s_cbranch_vccnz .LBB10_19
	s_branch .LBB10_20
.LBB10_18:                              ;   in Loop: Header=BB10_7 Depth=1
	v_mov_b32_e32 v5, v4
	s_cbranch_execz .LBB10_20
.LBB10_19:                              ;   in Loop: Header=BB10_7 Depth=1
	s_sub_i32 s14, s4, s43
	s_ashr_i32 s15, s14, 31
	s_lshl_b64 s[14:15], s[14:15], 2
	s_add_u32 s14, s37, s14
	s_addc_u32 s15, s38, s15
	global_load_dword v6, v2, s[14:15] offset:8
	s_waitcnt vmcnt(0)
	v_add_u32_e32 v5, v6, v5
.LBB10_20:                              ;   in Loop: Header=BB10_7 Depth=1
	s_not_b32 s15, s39
	s_add_i32 s14, s30, s15
	s_cmp_lt_i32 s14, 1
	s_cbranch_scc1 .LBB10_27
; %bb.21:                               ;   in Loop: Header=BB10_7 Depth=1
	s_cmp_eq_u32 s14, 1
	s_mov_b32 s37, 1
	s_cbranch_scc1 .LBB10_25
; %bb.22:                               ;   in Loop: Header=BB10_7 Depth=1
	s_and_b32 s37, s15, 1
	s_add_u32 s38, s40, -4
	s_addc_u32 s39, s41, -1
	v_mov_b32_e32 v6, 0
.LBB10_23:                              ;   Parent Loop BB10_7 Depth=1
                                        ; =>  This Inner Loop Header: Depth=2
	s_ashr_i32 s15, s14, 31
	s_lshl_b64 s[40:41], s[14:15], 2
	s_add_u32 s40, s38, s40
	s_addc_u32 s41, s39, s41
	global_load_dwordx2 v[8:9], v2, s[40:41]
	s_add_i32 s14, s14, -2
	s_cmp_lg_u32 s37, s14
	s_waitcnt vmcnt(0)
	v_add_u32_e32 v6, v8, v6
	v_add_u32_e32 v5, v9, v5
	s_cbranch_scc1 .LBB10_23
; %bb.24:                               ;   in Loop: Header=BB10_7 Depth=1
	s_cmp_lg_u32 s37, 0
	v_add_u32_e32 v5, v5, v6
	s_cselect_b64 s[14:15], -1, 0
	s_and_b64 vcc, exec, s[14:15]
	s_cbranch_vccnz .LBB10_26
	s_branch .LBB10_27
.LBB10_25:                              ;   in Loop: Header=BB10_7 Depth=1
	s_cbranch_execz .LBB10_27
.LBB10_26:                              ;   in Loop: Header=BB10_7 Depth=1
	s_lshl_b32 s14, s37, 2
	v_mov_b32_e32 v6, s14
	global_load_dword v6, v6, s[8:9] offset:8
	s_waitcnt vmcnt(0)
	v_add_u32_e32 v5, v6, v5
.LBB10_27:                              ;   in Loop: Header=BB10_7 Depth=1
	s_mul_i32 s4, s4, s11
	s_sub_i32 s4, s6, s4
	v_cmp_lt_i32_e32 vcc, s4, v4
	s_cbranch_vccz .LBB10_6
; %bb.28:                               ;   in Loop: Header=BB10_7 Depth=1
	s_add_i32 s8, s4, s5
	s_ashr_i32 s9, s8, 31
	s_lshl_b64 s[4:5], s[8:9], 2
	s_add_u32 s14, s34, s4
	s_addc_u32 s15, s35, s5
	global_load_dword v4, v2, s[14:15]
	s_waitcnt vmcnt(0)
	v_cmp_ne_u32_e32 vcc, 1, v4
	s_cbranch_vccnz .LBB10_6
; %bb.29:                               ;   in Loop: Header=BB10_7 Depth=1
	s_and_saveexec_b64 s[14:15], s[0:1]
	s_cbranch_execz .LBB10_31
; %bb.30:                               ;   in Loop: Header=BB10_7 Depth=1
	s_add_u32 s38, s23, s4
	s_addc_u32 s39, s24, s5
	s_add_u32 s4, s27, s4
	s_addc_u32 s5, s28, s5
	global_load_dword v4, v2, s[4:5]
	s_waitcnt vmcnt(0)
	global_store_dword v2, v4, s[38:39]
.LBB10_31:                              ;   in Loop: Header=BB10_7 Depth=1
	s_or_b64 exec, exec, s[14:15]
	v_cmp_lt_i32_e32 vcc, v0, v5
	s_and_saveexec_b64 s[4:5], vcc
	s_cbranch_execz .LBB10_5
; %bb.32:                               ;   in Loop: Header=BB10_7 Depth=1
	v_add_u32_e32 v4, v5, v3
	v_add_u32_e32 v3, v3, v0
	s_mul_i32 s9, s8, s21
	s_mul_i32 s8, s8, s3
	v_add_u32_e32 v6, s8, v3
	v_ashrrev_i32_e32 v7, 31, v6
	v_lshlrev_b64 v[6:7], 2, v[6:7]
	v_mov_b32_e32 v8, s13
	v_add_co_u32_e32 v5, vcc, s12, v6
	v_addc_co_u32_e32 v6, vcc, v8, v7, vcc
	v_add_u32_e32 v8, s9, v3
	v_ashrrev_i32_e32 v9, 31, v8
	v_lshlrev_b64 v[8:9], 2, v[8:9]
	v_mov_b32_e32 v10, s17
	v_add_co_u32_e32 v7, vcc, s16, v8
	v_addc_co_u32_e32 v8, vcc, v10, v9, vcc
	s_mov_b64 s[8:9], 0
	s_mov_b64 s[14:15], 0
.LBB10_33:                              ;   Parent Loop BB10_7 Depth=1
                                        ; =>  This Inner Loop Header: Depth=2
	v_mov_b32_e32 v9, s15
	v_add_co_u32_e32 v10, vcc, s14, v7
	v_addc_co_u32_e32 v11, vcc, v8, v9, vcc
	global_load_dword v12, v[10:11], off
	v_add_co_u32_e32 v10, vcc, s14, v5
	v_add_u32_e32 v3, s29, v3
	s_add_u32 s14, s14, s36
	v_addc_co_u32_e32 v11, vcc, v6, v9, vcc
	s_addc_u32 s15, s15, 0
	v_cmp_ge_i32_e32 vcc, v3, v4
	s_or_b64 s[8:9], vcc, s[8:9]
	s_waitcnt vmcnt(0)
	flat_store_dword v[10:11], v12
	s_andn2_b64 exec, exec, s[8:9]
	s_cbranch_execnz .LBB10_33
	s_branch .LBB10_5
.LBB10_34:
	s_endpgm
.LBB10_35:
                                        ; implicit-def: $sgpr12_sgpr13
                                        ; implicit-def: $sgpr22_sgpr23
	s_branch .LBB10_2
	.section	.rodata,"a",@progbits
	.p2align	6, 0x0
	.amdhsa_kernel _ZN9rocsolver6v33100L25stedcx_mergeUpdate_kernelIfEEviiPT_lS3_iilS3_S3_Pi
		.amdhsa_group_segment_fixed_size 0
		.amdhsa_private_segment_fixed_size 0
		.amdhsa_kernarg_size 328
		.amdhsa_user_sgpr_count 6
		.amdhsa_user_sgpr_private_segment_buffer 1
		.amdhsa_user_sgpr_dispatch_ptr 0
		.amdhsa_user_sgpr_queue_ptr 0
		.amdhsa_user_sgpr_kernarg_segment_ptr 1
		.amdhsa_user_sgpr_dispatch_id 0
		.amdhsa_user_sgpr_flat_scratch_init 0
		.amdhsa_user_sgpr_kernarg_preload_length 0
		.amdhsa_user_sgpr_kernarg_preload_offset 0
		.amdhsa_user_sgpr_private_segment_size 0
		.amdhsa_uses_dynamic_stack 0
		.amdhsa_system_sgpr_private_segment_wavefront_offset 0
		.amdhsa_system_sgpr_workgroup_id_x 1
		.amdhsa_system_sgpr_workgroup_id_y 1
		.amdhsa_system_sgpr_workgroup_id_z 1
		.amdhsa_system_sgpr_workgroup_info 0
		.amdhsa_system_vgpr_workitem_id 0
		.amdhsa_next_free_vgpr 13
		.amdhsa_next_free_sgpr 48
		.amdhsa_accum_offset 16
		.amdhsa_reserve_vcc 1
		.amdhsa_reserve_flat_scratch 0
		.amdhsa_float_round_mode_32 0
		.amdhsa_float_round_mode_16_64 0
		.amdhsa_float_denorm_mode_32 3
		.amdhsa_float_denorm_mode_16_64 3
		.amdhsa_dx10_clamp 1
		.amdhsa_ieee_mode 1
		.amdhsa_fp16_overflow 0
		.amdhsa_tg_split 0
		.amdhsa_exception_fp_ieee_invalid_op 0
		.amdhsa_exception_fp_denorm_src 0
		.amdhsa_exception_fp_ieee_div_zero 0
		.amdhsa_exception_fp_ieee_overflow 0
		.amdhsa_exception_fp_ieee_underflow 0
		.amdhsa_exception_fp_ieee_inexact 0
		.amdhsa_exception_int_div_zero 0
	.end_amdhsa_kernel
	.section	.text._ZN9rocsolver6v33100L25stedcx_mergeUpdate_kernelIfEEviiPT_lS3_iilS3_S3_Pi,"axG",@progbits,_ZN9rocsolver6v33100L25stedcx_mergeUpdate_kernelIfEEviiPT_lS3_iilS3_S3_Pi,comdat
.Lfunc_end10:
	.size	_ZN9rocsolver6v33100L25stedcx_mergeUpdate_kernelIfEEviiPT_lS3_iilS3_S3_Pi, .Lfunc_end10-_ZN9rocsolver6v33100L25stedcx_mergeUpdate_kernelIfEEviiPT_lS3_iilS3_S3_Pi
                                        ; -- End function
	.section	.AMDGPU.csdata,"",@progbits
; Kernel info:
; codeLenInByte = 1536
; NumSgprs: 52
; NumVgprs: 13
; NumAgprs: 0
; TotalNumVgprs: 13
; ScratchSize: 0
; MemoryBound: 0
; FloatMode: 240
; IeeeMode: 1
; LDSByteSize: 0 bytes/workgroup (compile time only)
; SGPRBlocks: 6
; VGPRBlocks: 1
; NumSGPRsForWavesPerEU: 52
; NumVGPRsForWavesPerEU: 13
; AccumOffset: 16
; Occupancy: 8
; WaveLimiterHint : 1
; COMPUTE_PGM_RSRC2:SCRATCH_EN: 0
; COMPUTE_PGM_RSRC2:USER_SGPR: 6
; COMPUTE_PGM_RSRC2:TRAP_HANDLER: 0
; COMPUTE_PGM_RSRC2:TGID_X_EN: 1
; COMPUTE_PGM_RSRC2:TGID_Y_EN: 1
; COMPUTE_PGM_RSRC2:TGID_Z_EN: 1
; COMPUTE_PGM_RSRC2:TIDIG_COMP_CNT: 0
; COMPUTE_PGM_RSRC3_GFX90A:ACCUM_OFFSET: 3
; COMPUTE_PGM_RSRC3_GFX90A:TG_SPLIT: 0
	.section	.text._ZN9rocsolver6v33100L23stedcx_synthesis_kernelIfEEv15rocblas_erange_iiiPT_lPiS4_lS4_iliS5_S4_S3_,"axG",@progbits,_ZN9rocsolver6v33100L23stedcx_synthesis_kernelIfEEv15rocblas_erange_iiiPT_lPiS4_lS4_iliS5_S4_S3_,comdat
	.globl	_ZN9rocsolver6v33100L23stedcx_synthesis_kernelIfEEv15rocblas_erange_iiiPT_lPiS4_lS4_iliS5_S4_S3_ ; -- Begin function _ZN9rocsolver6v33100L23stedcx_synthesis_kernelIfEEv15rocblas_erange_iiiPT_lPiS4_lS4_iliS5_S4_S3_
	.p2align	8
	.type	_ZN9rocsolver6v33100L23stedcx_synthesis_kernelIfEEv15rocblas_erange_iiiPT_lPiS4_lS4_iliS5_S4_S3_,@function
_ZN9rocsolver6v33100L23stedcx_synthesis_kernelIfEEv15rocblas_erange_iiiPT_lPiS4_lS4_iliS5_S4_S3_: ; @_ZN9rocsolver6v33100L23stedcx_synthesis_kernelIfEEv15rocblas_erange_iiiPT_lPiS4_lS4_iliS5_S4_S3_
; %bb.0:
	s_load_dwordx4 s[8:11], s[4:5], 0x0
	s_load_dword s0, s[4:5], 0x7c
	s_load_dwordx8 s[20:27], s[4:5], 0x10
	s_load_dwordx4 s[12:15], s[4:5], 0x30
	s_ashr_i32 s17, s7, 31
	s_mov_b32 s16, s7
	s_waitcnt lgkmcnt(0)
	s_and_b32 s33, s0, 0xffff
	s_mul_i32 s0, s7, s23
	s_mul_hi_u32 s1, s7, s22
	s_add_i32 s0, s1, s0
	s_mul_i32 s1, s17, s22
	s_add_i32 s1, s0, s1
	s_mul_i32 s0, s7, s22
	s_lshl_b64 s[0:1], s[0:1], 2
	s_add_u32 s6, s20, s0
	s_addc_u32 s7, s21, s1
	s_mul_i32 s0, s16, s13
	s_mul_hi_u32 s1, s16, s12
	s_add_i32 s0, s1, s0
	s_mul_i32 s1, s17, s12
	s_add_i32 s1, s0, s1
	s_mul_i32 s0, s16, s12
	s_lshl_b64 s[0:1], s[0:1], 2
	s_add_u32 s46, s26, s0
	s_addc_u32 s47, s27, s1
	s_lshl_b64 s[0:1], s[16:17], 2
	s_add_u32 s12, s24, s0
	s_addc_u32 s13, s25, s1
	s_cmpk_lg_i32 s8, 0xe7
	s_mov_b64 s[0:1], -1
	s_cbranch_scc0 .LBB11_53
; %bb.1:
	s_load_dwordx4 s[0:3], s[4:5], 0x58
	s_mul_i32 s18, s9, 5
	s_add_i32 s18, s18, 2
	s_mul_i32 s18, s18, s16
	s_ashr_i32 s19, s18, 31
	s_lshl_b64 s[18:19], s[18:19], 2
	s_waitcnt lgkmcnt(0)
	s_add_u32 s0, s0, s18
	s_mov_b32 s34, s9
	s_addc_u32 s1, s1, s19
	s_ashr_i32 s35, s9, 31
	s_lshl_b64 s[20:21], s[34:35], 2
	s_add_u32 s40, s0, s20
	s_addc_u32 s41, s1, s21
	s_lshl_b32 s0, s9, 1
	s_ashr_i32 s1, s0, 31
	s_lshl_b64 s[0:1], s[0:1], 2
	s_add_u32 s48, s40, s0
	s_addc_u32 s49, s41, s1
	v_cmp_eq_u32_e32 vcc, 0, v0
	s_and_saveexec_b64 s[18:19], vcc
	s_cbranch_execz .LBB11_44
; %bb.2:
	s_lshl_b32 s42, s9, 2
	s_or_b32 s0, s42, 2
	s_mul_i32 s0, s0, s16
	s_ashr_i32 s1, s0, 31
	s_lshl_b64 s[0:1], s[0:1], 2
	s_add_u32 s22, s2, s0
	s_addc_u32 s23, s3, s1
	s_load_dwordx2 s[24:25], s[22:23], 0x0
	s_cmp_gt_i32 s9, 0
	s_cselect_b64 s[28:29], -1, 0
	s_cmpk_eq_i32 s8, 0xe9
	s_cbranch_scc1 .LBB11_8
; %bb.3:
	s_andn2_b64 vcc, exec, s[28:29]
	s_cbranch_vccnz .LBB11_9
; %bb.4:
	s_add_u32 s26, s48, 8
	s_addc_u32 s27, s49, 0
	s_mov_b32 s30, 0
	v_mov_b32_e32 v1, 0
	v_mov_b32_e32 v2, 1
	s_mov_b64 s[36:37], s[6:7]
	s_mov_b32 s8, s34
	s_branch .LBB11_6
.LBB11_5:                               ;   in Loop: Header=BB11_6 Depth=1
	s_add_i32 s8, s8, -1
	s_add_u32 s26, s26, 4
	s_addc_u32 s27, s27, 0
	s_add_u32 s36, s36, 4
	s_addc_u32 s37, s37, 0
	s_cmp_eq_u32 s8, 0
	s_cbranch_scc1 .LBB11_10
.LBB11_6:                               ; =>This Inner Loop Header: Depth=1
	global_load_dword v3, v1, s[36:37]
	s_waitcnt vmcnt(0) lgkmcnt(0)
	v_cmp_nle_f32_e32 vcc, s24, v3
	v_cmp_nge_f32_e64 s[0:1], s25, v3
	s_or_b64 s[0:1], vcc, s[0:1]
	s_and_b64 vcc, exec, s[0:1]
	global_store_dword v1, v1, s[26:27]
	s_cbranch_vccnz .LBB11_5
; %bb.7:                                ;   in Loop: Header=BB11_6 Depth=1
	s_ashr_i32 s31, s30, 31
	s_add_i32 s35, s30, 1
	s_lshl_b64 s[0:1], s[30:31], 2
	s_add_u32 s0, s46, s0
	s_mov_b32 s30, s35
	s_addc_u32 s1, s47, s1
	global_store_dword v1, v2, s[26:27]
	global_store_dword v1, v3, s[0:1]
	s_branch .LBB11_5
.LBB11_8:
                                        ; implicit-def: $sgpr30
	s_branch .LBB11_11
.LBB11_9:
	s_mov_b32 s30, 0
.LBB11_10:
	s_cbranch_execnz .LBB11_43
.LBB11_11:
	s_add_u32 s0, s22, s20
	s_addc_u32 s1, s23, s21
	s_add_u32 s26, s0, 12
	s_addc_u32 s27, s1, 0
	;; [unrolled: 2-line block ×3, first 2 shown]
	s_andn2_b64 vcc, exec, s[28:29]
	s_cbranch_vccnz .LBB11_16
; %bb.12:
	s_add_u32 s30, s48, 8
	s_addc_u32 s31, s49, 0
	s_add_u32 s8, s40, 8
	s_addc_u32 s35, s41, 0
	s_add_u32 s38, s43, -4
	s_addc_u32 s39, s44, -1
	s_mov_b32 s45, 0
	v_mov_b32_e32 v1, 0
	v_mov_b32_e32 v2, 1
	s_mov_b64 s[36:37], s[6:7]
	s_mov_b32 s28, 0
	s_branch .LBB11_14
.LBB11_13:                              ;   in Loop: Header=BB11_14 Depth=1
	s_add_i32 s45, s45, 1
	s_add_u32 s30, s30, 4
	s_addc_u32 s31, s31, 0
	s_add_u32 s36, s36, 4
	s_addc_u32 s37, s37, 0
	s_cmp_eq_u32 s9, s45
	s_cbranch_scc1 .LBB11_17
.LBB11_14:                              ; =>This Inner Loop Header: Depth=1
	global_load_dword v3, v1, s[36:37]
	s_waitcnt vmcnt(0) lgkmcnt(0)
	v_cmp_nle_f32_e32 vcc, s24, v3
	v_cmp_nge_f32_e64 s[0:1], s25, v3
	s_or_b64 s[0:1], vcc, s[0:1]
	s_and_b64 vcc, exec, s[0:1]
	global_store_dword v1, v1, s[30:31]
	s_cbranch_vccnz .LBB11_13
; %bb.15:                               ;   in Loop: Header=BB11_14 Depth=1
	s_ashr_i32 s29, s28, 31
	s_add_i32 s52, s28, 1
	s_lshl_b64 s[0:1], s[28:29], 2
	s_add_u32 s50, s8, s0
	s_addc_u32 s51, s35, s1
	s_add_i32 s28, s28, s9
	s_ashr_i32 s29, s28, 31
	s_lshl_b64 s[28:29], s[28:29], 2
	s_add_u32 s28, s38, s28
	s_addc_u32 s29, s39, s29
	s_add_u32 s0, s38, s0
	s_addc_u32 s1, s39, s1
	global_store_dword v1, v2, s[30:31]
	global_store_dword v1, v3, s[0:1]
	;; [unrolled: 1-line block ×3, first 2 shown]
	v_mov_b32_e32 v3, s45
	s_mov_b32 s28, s52
	global_store_dword v1, v3, s[50:51]
	s_branch .LBB11_13
.LBB11_16:
	s_mov_b32 s28, 0
.LBB11_17:
	s_cmp_lt_i32 s28, 2
	s_mul_hi_i32 s45, s34, 12
	s_mul_i32 s54, s34, 12
	s_cbranch_scc1 .LBB11_24
; %bb.18:
	s_add_u32 s0, s43, s20
	s_addc_u32 s1, s44, s21
	s_add_u32 s8, s0, -4
	s_waitcnt lgkmcnt(0)
	s_addc_u32 s24, s1, -1
	s_add_u32 s29, s0, -8
	s_addc_u32 s50, s1, -1
	s_add_i32 s0, s42, 2
	s_mul_i32 s0, s16, s0
	s_ashr_i32 s1, s0, 31
	s_lshl_b64 s[0:1], s[0:1], 2
	s_add_u32 s0, s54, s0
	s_addc_u32 s1, s45, s1
	s_add_u32 s0, s0, s2
	s_addc_u32 s1, s1, s3
	;; [unrolled: 2-line block ×3, first 2 shown]
	s_mov_b32 s30, 1
	v_mov_b32_e32 v1, 0
	s_branch .LBB11_20
.LBB11_19:                              ;   in Loop: Header=BB11_20 Depth=1
	s_add_i32 s30, s30, 1
	s_add_u32 s0, s0, 4
	s_addc_u32 s1, s1, 0
	s_cmp_lg_u32 s30, s28
	s_cbranch_scc0 .LBB11_24
.LBB11_20:                              ; =>This Loop Header: Depth=1
                                        ;     Child Loop BB11_21 Depth 2
	s_ashr_i32 s31, s30, 31
	s_add_i32 s37, s30, -1
	s_lshl_b64 s[34:35], s[30:31], 2
	s_add_u32 s34, s29, s34
	s_addc_u32 s35, s50, s35
	global_load_dword v2, v1, s[34:35]
	s_mov_b64 s[38:39], s[0:1]
	s_mov_b32 s31, s30
	s_mov_b32 s36, s37
	s_waitcnt vmcnt(0)
	v_mov_b32_e32 v3, v2
.LBB11_21:                              ;   Parent Loop BB11_20 Depth=1
                                        ; =>  This Inner Loop Header: Depth=2
	global_load_dword v4, v1, s[38:39]
	s_waitcnt vmcnt(0)
	v_cmp_lt_f32_e32 vcc, v4, v3
	s_and_b64 s[52:53], vcc, exec
	s_cselect_b32 s36, s31, s36
	s_add_i32 s31, s31, 1
	s_add_u32 s38, s38, 4
	s_addc_u32 s39, s39, 0
	v_cndmask_b32_e32 v3, v3, v4, vcc
	s_cmp_ge_i32 s31, s28
	s_cbranch_scc0 .LBB11_21
; %bb.22:                               ;   in Loop: Header=BB11_20 Depth=1
	s_cmp_lg_u32 s36, s37
	s_cbranch_scc0 .LBB11_19
; %bb.23:                               ;   in Loop: Header=BB11_20 Depth=1
	s_ashr_i32 s37, s36, 31
	s_lshl_b64 s[36:37], s[36:37], 2
	s_add_u32 s36, s8, s36
	s_addc_u32 s37, s24, s37
	global_store_dword v1, v2, s[36:37]
	global_store_dword v1, v3, s[34:35]
	s_branch .LBB11_19
.LBB11_24:
	s_cmp_lt_i32 s28, 1
	s_cbranch_scc1 .LBB11_42
; %bb.25:
	s_add_i32 s8, s28, -1
	s_cmp_gt_i32 s9, 1
	s_cselect_b64 s[0:1], -1, 0
	s_waitcnt lgkmcnt(0)
	s_add_u32 s24, s43, -4
	s_addc_u32 s29, s44, -1
	s_add_u32 s50, s40, 8
	s_addc_u32 s51, s41, 0
	s_add_u32 s52, s48, 8
	s_addc_u32 s53, s49, 0
	s_add_i32 s42, s42, 2
	s_mul_i32 s30, s16, s42
	s_ashr_i32 s31, s30, 31
	s_lshl_b64 s[30:31], s[30:31], 2
	s_add_u32 s2, s30, s2
	s_addc_u32 s3, s31, s3
	s_add_u32 s30, s2, s54
	s_addc_u32 s31, s3, s45
	s_add_u32 s34, s30, 8
	s_addc_u32 s35, s31, 0
	s_add_i32 s54, s9, -1
	s_add_u32 s36, s2, 12
	s_mov_b32 s39, 0
	v_cndmask_b32_e64 v2, 0, 1, s[0:1]
	s_addc_u32 s37, s3, 0
	v_mov_b32_e32 v1, 0
	v_cmp_ne_u32_e64 s[0:1], 1, v2
	s_mov_b32 s38, s39
	s_mov_b32 s30, s39
	s_branch .LBB11_28
.LBB11_26:                              ;   in Loop: Header=BB11_28 Depth=1
	s_mov_b32 s30, s31
.LBB11_27:                              ;   in Loop: Header=BB11_28 Depth=1
	s_add_i32 s38, s38, 1
	s_cmp_eq_u32 s38, s28
	s_cbranch_scc1 .LBB11_43
.LBB11_28:                              ; =>This Loop Header: Depth=1
                                        ;     Child Loop BB11_30 Depth 2
                                        ;     Child Loop BB11_37 Depth 2
	s_lshl_b64 s[40:41], s[38:39], 2
	s_add_u32 s2, s24, s40
	s_addc_u32 s3, s29, s41
	global_load_dword v2, v1, s[2:3]
	s_mov_b64 s[44:45], s[34:35]
	s_mov_b32 s55, s39
	s_branch .LBB11_30
.LBB11_29:                              ;   in Loop: Header=BB11_30 Depth=2
	s_add_i32 s55, s31, 1
	s_cmp_eq_u32 s28, s55
	s_mov_b64 s[42:43], 0
	s_cselect_b64 s[44:45], -1, 0
	s_andn2_b64 vcc, exec, s[44:45]
	s_mov_b64 s[44:45], s[2:3]
	s_cbranch_vccz .LBB11_32
.LBB11_30:                              ;   Parent Loop BB11_28 Depth=1
                                        ; =>  This Inner Loop Header: Depth=2
	global_load_dword v4, v1, s[44:45]
	s_add_u32 s2, s44, 4
	s_mov_b32 s31, s55
	s_addc_u32 s3, s45, 0
	s_waitcnt vmcnt(0)
	v_cmp_neq_f32_e32 vcc, v2, v4
	s_cbranch_vccnz .LBB11_29
; %bb.31:                               ;   in Loop: Header=BB11_28 Depth=1
	s_mov_b64 s[42:43], -1
                                        ; implicit-def: $sgpr55
	s_mov_b64 s[44:45], s[2:3]
.LBB11_32:                              ;   in Loop: Header=BB11_28 Depth=1
	s_and_b64 vcc, exec, s[42:43]
	s_cbranch_vccz .LBB11_27
; %bb.33:                               ;   in Loop: Header=BB11_28 Depth=1
	s_cmp_eq_u32 s31, s8
	v_mov_b32_e32 v5, s25
	s_cbranch_scc1 .LBB11_35
; %bb.34:                               ;   in Loop: Header=BB11_28 Depth=1
	global_load_dword v5, v1, s[2:3]
.LBB11_35:                              ;   in Loop: Header=BB11_28 Depth=1
	global_load_dword v6, v1, s[26:27] offset:-4
	global_load_dword v3, v1, s[22:23] offset:8
	s_waitcnt vmcnt(2)
	v_sub_f32_e32 v4, v5, v4
	v_fma_f32 v4, 0.5, v4, v2
	s_and_b64 vcc, exec, s[0:1]
	s_waitcnt vmcnt(1)
	v_sub_f32_e32 v5, v6, v4
	s_waitcnt vmcnt(0)
	v_cmp_le_f32_e64 s[2:3], v5, v3
	v_cndmask_b32_e64 v6, 0, 1, s[2:3]
	v_readfirstlane_b32 s31, v6
	s_cbranch_vccnz .LBB11_38
; %bb.36:                               ;   in Loop: Header=BB11_28 Depth=1
	v_cmp_gt_f32_e64 s[42:43], v5, -v3
	s_and_b64 s[2:3], s[2:3], s[42:43]
	v_cndmask_b32_e64 v5, v5, -v3, s[2:3]
	s_mov_b64 s[2:3], s[36:37]
	s_mov_b32 s42, s54
.LBB11_37:                              ;   Parent Loop BB11_28 Depth=1
                                        ; =>  This Inner Loop Header: Depth=2
	s_add_u32 s44, s2, s20
	s_addc_u32 s45, s3, s21
	global_load_dword v6, v1, s[44:45]
	global_load_dword v7, v1, s[2:3]
	s_waitcnt vmcnt(1)
	v_sub_f32_e32 v6, v6, v4
	s_waitcnt vmcnt(0)
	v_div_scale_f32 v8, s[44:45], v5, v5, v7
	v_rcp_f32_e32 v10, v8
	v_div_scale_f32 v9, vcc, v7, v5, v7
	v_fma_f32 v11, -v8, v10, 1.0
	v_fmac_f32_e32 v10, v11, v10
	v_mul_f32_e32 v11, v9, v10
	v_fma_f32 v12, -v8, v11, v9
	v_fmac_f32_e32 v11, v12, v10
	v_fma_f32 v8, -v8, v11, v9
	v_div_fmas_f32 v8, v8, v10, v11
	v_div_fixup_f32 v5, v8, v5, v7
	v_sub_f32_e32 v5, v6, v5
	v_cmp_le_f32_e32 vcc, v5, v3
	v_cmp_gt_f32_e64 s[44:45], v5, -v3
	s_and_b64 s[44:45], vcc, s[44:45]
	s_cmp_lg_u64 vcc, 0
	s_addc_u32 s31, s31, 0
	s_add_i32 s42, s42, -1
	s_add_u32 s2, s2, 4
	s_addc_u32 s3, s3, 0
	s_cmp_lg_u32 s42, 0
	v_cndmask_b32_e64 v5, v5, -v3, s[44:45]
	s_cbranch_scc1 .LBB11_37
.LBB11_38:                              ;   in Loop: Header=BB11_28 Depth=1
	s_cmp_lt_i32 s31, s10
	s_cselect_b64 s[2:3], -1, 0
	s_cmp_gt_i32 s31, s11
	s_cselect_b64 s[42:43], -1, 0
	s_or_b64 s[42:43], s[2:3], s[42:43]
	s_mov_b64 s[2:3], -1
	s_and_b64 vcc, exec, s[42:43]
                                        ; implicit-def: $sgpr31
	s_cbranch_vccnz .LBB11_40
; %bb.39:                               ;   in Loop: Header=BB11_28 Depth=1
	s_ashr_i32 s31, s30, 31
	s_lshl_b64 s[2:3], s[30:31], 2
	s_add_u32 s2, s46, s2
	s_addc_u32 s3, s47, s3
	global_store_dword v1, v2, s[2:3]
	s_add_i32 s31, s30, 1
	s_mov_b64 s[2:3], 0
.LBB11_40:                              ;   in Loop: Header=BB11_28 Depth=1
	s_andn2_b64 vcc, exec, s[2:3]
	s_cbranch_vccnz .LBB11_26
; %bb.41:                               ;   in Loop: Header=BB11_28 Depth=1
	s_add_u32 s2, s50, s40
	s_addc_u32 s3, s51, s41
	global_load_dword v2, v1, s[2:3]
	v_mov_b32_e32 v4, s53
	s_mov_b32 s31, s30
	s_waitcnt vmcnt(0)
	v_ashrrev_i32_e32 v3, 31, v2
	v_lshlrev_b64 v[2:3], 2, v[2:3]
	v_add_co_u32_e32 v2, vcc, s52, v2
	v_addc_co_u32_e32 v3, vcc, v4, v3, vcc
	global_store_dword v[2:3], v1, off
	s_branch .LBB11_26
.LBB11_42:
	s_mov_b32 s30, 0
.LBB11_43:
	v_mov_b32_e32 v1, 0
	v_mov_b32_e32 v2, s30
	global_store_dword v1, v2, s[12:13]
.LBB11_44:
	s_or_b64 exec, exec, s[18:19]
	s_cmp_lt_i32 s9, 1
	s_waitcnt lgkmcnt(0)
	s_barrier
	s_cbranch_scc1 .LBB11_52
; %bb.45:
	s_load_dwordx2 s[0:1], s[4:5], 0x48
	s_load_dword s8, s[4:5], 0x40
	v_cmp_le_i32_e32 vcc, s9, v0
	v_mov_b32_e32 v1, 0
	v_mov_b32_e32 v2, v0
	s_waitcnt lgkmcnt(0)
	s_mul_i32 s1, s16, s1
	s_mul_hi_u32 s2, s16, s0
	s_mul_i32 s3, s17, s0
	s_add_i32 s1, s2, s1
	s_mul_i32 s0, s16, s0
	s_add_i32 s1, s1, s3
	s_lshl_b64 s[0:1], s[0:1], 2
	s_add_u32 s0, s14, s0
	s_addc_u32 s1, s15, s1
	s_add_u32 s18, s48, 8
	s_mov_b32 s3, 0
	s_addc_u32 s19, s49, 0
	s_lshl_b32 s20, s33, 2
	s_xor_b64 s[4:5], vcc, -1
	s_mov_b32 s2, s3
	s_mov_b32 s21, s3
	s_branch .LBB11_48
.LBB11_46:                              ;   in Loop: Header=BB11_48 Depth=1
	s_or_b64 exec, exec, s[10:11]
	s_add_i32 s21, s21, 1
.LBB11_47:                              ;   in Loop: Header=BB11_48 Depth=1
	s_add_i32 s2, s2, 1
	s_cmp_lg_u32 s2, s9
	v_add_u32_e32 v2, s8, v2
	s_barrier
	s_cbranch_scc0 .LBB11_52
.LBB11_48:                              ; =>This Loop Header: Depth=1
                                        ;     Child Loop BB11_51 Depth 2
	s_lshl_b64 s[10:11], s[2:3], 2
	s_add_u32 s10, s18, s10
	s_addc_u32 s11, s19, s11
	global_load_dword v3, v1, s[10:11]
	s_waitcnt vmcnt(0)
	v_cmp_ne_u32_e32 vcc, 1, v3
	s_cbranch_vccnz .LBB11_47
; %bb.49:                               ;   in Loop: Header=BB11_48 Depth=1
	s_cmp_lg_u32 s2, s21
	s_cselect_b64 s[10:11], -1, 0
	s_and_b64 s[14:15], s[10:11], s[4:5]
	s_and_saveexec_b64 s[10:11], s[14:15]
	s_cbranch_execz .LBB11_46
; %bb.50:                               ;   in Loop: Header=BB11_48 Depth=1
	s_mul_i32 s14, s21, s8
	v_add_u32_e32 v6, s14, v0
	v_ashrrev_i32_e32 v3, 31, v2
	v_ashrrev_i32_e32 v7, 31, v6
	v_lshlrev_b64 v[4:5], 2, v[2:3]
	v_lshlrev_b64 v[6:7], 2, v[6:7]
	s_mov_b64 s[14:15], 0
	s_mov_b64 s[16:17], s[0:1]
	v_mov_b32_e32 v3, v0
.LBB11_51:                              ;   Parent Loop BB11_48 Depth=1
                                        ; =>  This Inner Loop Header: Depth=2
	v_mov_b32_e32 v10, s17
	v_add_co_u32_e32 v8, vcc, s16, v4
	v_addc_co_u32_e32 v9, vcc, v10, v5, vcc
	global_load_dword v11, v[8:9], off
	v_add_co_u32_e32 v8, vcc, s16, v6
	v_add_u32_e32 v3, s33, v3
	s_add_u32 s16, s16, s20
	v_addc_co_u32_e32 v9, vcc, v10, v7, vcc
	s_addc_u32 s17, s17, 0
	v_cmp_le_i32_e32 vcc, s9, v3
	s_or_b64 s[14:15], vcc, s[14:15]
	s_waitcnt vmcnt(0)
	global_store_dword v[8:9], v11, off
	s_andn2_b64 exec, exec, s[14:15]
	s_cbranch_execnz .LBB11_51
	s_branch .LBB11_46
.LBB11_52:
	s_mov_b64 s[0:1], 0
.LBB11_53:
	s_and_b64 vcc, exec, s[0:1]
	s_cbranch_vccz .LBB11_57
; %bb.54:
	v_mov_b32_e32 v1, 0
	v_mov_b32_e32 v2, s9
	v_cmp_gt_i32_e32 vcc, s9, v0
	global_store_dword v1, v2, s[12:13]
	s_and_saveexec_b64 s[0:1], vcc
	s_cbranch_execz .LBB11_57
; %bb.55:
	s_mov_b32 s3, 0
	v_lshlrev_b32_e32 v2, 2, v0
	s_lshl_b32 s2, s33, 2
	s_mov_b64 s[0:1], 0
	v_mov_b32_e32 v3, s7
	v_mov_b32_e32 v4, s47
	v_mov_b32_e32 v5, s3
.LBB11_56:                              ; =>This Inner Loop Header: Depth=1
	v_add_co_u32_e32 v6, vcc, s6, v2
	v_addc_co_u32_e32 v7, vcc, v3, v1, vcc
	global_load_dword v8, v[6:7], off
	v_add_co_u32_e32 v6, vcc, s46, v2
	v_addc_co_u32_e32 v7, vcc, v4, v1, vcc
	v_add_co_u32_e32 v2, vcc, s2, v2
	v_add_u32_e32 v0, s33, v0
	v_addc_co_u32_e32 v1, vcc, v1, v5, vcc
	v_cmp_le_i32_e32 vcc, s9, v0
	s_or_b64 s[0:1], vcc, s[0:1]
	s_waitcnt vmcnt(0)
	global_store_dword v[6:7], v8, off
	s_andn2_b64 exec, exec, s[0:1]
	s_cbranch_execnz .LBB11_56
.LBB11_57:
	s_endpgm
	.section	.rodata,"a",@progbits
	.p2align	6, 0x0
	.amdhsa_kernel _ZN9rocsolver6v33100L23stedcx_synthesis_kernelIfEEv15rocblas_erange_iiiPT_lPiS4_lS4_iliS5_S4_S3_
		.amdhsa_group_segment_fixed_size 0
		.amdhsa_private_segment_fixed_size 0
		.amdhsa_kernarg_size 368
		.amdhsa_user_sgpr_count 6
		.amdhsa_user_sgpr_private_segment_buffer 1
		.amdhsa_user_sgpr_dispatch_ptr 0
		.amdhsa_user_sgpr_queue_ptr 0
		.amdhsa_user_sgpr_kernarg_segment_ptr 1
		.amdhsa_user_sgpr_dispatch_id 0
		.amdhsa_user_sgpr_flat_scratch_init 0
		.amdhsa_user_sgpr_kernarg_preload_length 0
		.amdhsa_user_sgpr_kernarg_preload_offset 0
		.amdhsa_user_sgpr_private_segment_size 0
		.amdhsa_uses_dynamic_stack 0
		.amdhsa_system_sgpr_private_segment_wavefront_offset 0
		.amdhsa_system_sgpr_workgroup_id_x 1
		.amdhsa_system_sgpr_workgroup_id_y 1
		.amdhsa_system_sgpr_workgroup_id_z 0
		.amdhsa_system_sgpr_workgroup_info 0
		.amdhsa_system_vgpr_workitem_id 0
		.amdhsa_next_free_vgpr 13
		.amdhsa_next_free_sgpr 56
		.amdhsa_accum_offset 16
		.amdhsa_reserve_vcc 1
		.amdhsa_reserve_flat_scratch 0
		.amdhsa_float_round_mode_32 0
		.amdhsa_float_round_mode_16_64 0
		.amdhsa_float_denorm_mode_32 3
		.amdhsa_float_denorm_mode_16_64 3
		.amdhsa_dx10_clamp 1
		.amdhsa_ieee_mode 1
		.amdhsa_fp16_overflow 0
		.amdhsa_tg_split 0
		.amdhsa_exception_fp_ieee_invalid_op 0
		.amdhsa_exception_fp_denorm_src 0
		.amdhsa_exception_fp_ieee_div_zero 0
		.amdhsa_exception_fp_ieee_overflow 0
		.amdhsa_exception_fp_ieee_underflow 0
		.amdhsa_exception_fp_ieee_inexact 0
		.amdhsa_exception_int_div_zero 0
	.end_amdhsa_kernel
	.section	.text._ZN9rocsolver6v33100L23stedcx_synthesis_kernelIfEEv15rocblas_erange_iiiPT_lPiS4_lS4_iliS5_S4_S3_,"axG",@progbits,_ZN9rocsolver6v33100L23stedcx_synthesis_kernelIfEEv15rocblas_erange_iiiPT_lPiS4_lS4_iliS5_S4_S3_,comdat
.Lfunc_end11:
	.size	_ZN9rocsolver6v33100L23stedcx_synthesis_kernelIfEEv15rocblas_erange_iiiPT_lPiS4_lS4_iliS5_S4_S3_, .Lfunc_end11-_ZN9rocsolver6v33100L23stedcx_synthesis_kernelIfEEv15rocblas_erange_iiiPT_lPiS4_lS4_iliS5_S4_S3_
                                        ; -- End function
	.section	.AMDGPU.csdata,"",@progbits
; Kernel info:
; codeLenInByte = 2112
; NumSgprs: 60
; NumVgprs: 13
; NumAgprs: 0
; TotalNumVgprs: 13
; ScratchSize: 0
; MemoryBound: 0
; FloatMode: 240
; IeeeMode: 1
; LDSByteSize: 0 bytes/workgroup (compile time only)
; SGPRBlocks: 7
; VGPRBlocks: 1
; NumSGPRsForWavesPerEU: 60
; NumVGPRsForWavesPerEU: 13
; AccumOffset: 16
; Occupancy: 8
; WaveLimiterHint : 1
; COMPUTE_PGM_RSRC2:SCRATCH_EN: 0
; COMPUTE_PGM_RSRC2:USER_SGPR: 6
; COMPUTE_PGM_RSRC2:TRAP_HANDLER: 0
; COMPUTE_PGM_RSRC2:TGID_X_EN: 1
; COMPUTE_PGM_RSRC2:TGID_Y_EN: 1
; COMPUTE_PGM_RSRC2:TGID_Z_EN: 0
; COMPUTE_PGM_RSRC2:TIDIG_COMP_CNT: 0
; COMPUTE_PGM_RSRC3_GFX90A:ACCUM_OFFSET: 3
; COMPUTE_PGM_RSRC3_GFX90A:TG_SPLIT: 0
	.section	.text._ZN9rocsolver6v33100L8copy_matIfPfNS0_7no_maskEEEvNS0_17copymat_directionEiiT0_iilPT_T1_13rocblas_fill_17rocblas_diagonal_,"axG",@progbits,_ZN9rocsolver6v33100L8copy_matIfPfNS0_7no_maskEEEvNS0_17copymat_directionEiiT0_iilPT_T1_13rocblas_fill_17rocblas_diagonal_,comdat
	.globl	_ZN9rocsolver6v33100L8copy_matIfPfNS0_7no_maskEEEvNS0_17copymat_directionEiiT0_iilPT_T1_13rocblas_fill_17rocblas_diagonal_ ; -- Begin function _ZN9rocsolver6v33100L8copy_matIfPfNS0_7no_maskEEEvNS0_17copymat_directionEiiT0_iilPT_T1_13rocblas_fill_17rocblas_diagonal_
	.p2align	8
	.type	_ZN9rocsolver6v33100L8copy_matIfPfNS0_7no_maskEEEvNS0_17copymat_directionEiiT0_iilPT_T1_13rocblas_fill_17rocblas_diagonal_,@function
_ZN9rocsolver6v33100L8copy_matIfPfNS0_7no_maskEEEvNS0_17copymat_directionEiiT0_iilPT_T1_13rocblas_fill_17rocblas_diagonal_: ; @_ZN9rocsolver6v33100L8copy_matIfPfNS0_7no_maskEEEvNS0_17copymat_directionEiiT0_iilPT_T1_13rocblas_fill_17rocblas_diagonal_
; %bb.0:
	s_load_dword s0, s[4:5], 0x4c
	s_load_dwordx4 s[12:15], s[4:5], 0x0
	v_bfe_u32 v1, v0, 10, 10
	v_and_b32_e32 v0, 0x3ff, v0
	s_waitcnt lgkmcnt(0)
	s_lshr_b32 s1, s0, 16
	s_and_b32 s0, s0, 0xffff
	s_mul_i32 s7, s7, s1
	s_mul_i32 s6, s6, s0
	v_add_u32_e32 v1, s7, v1
	v_add_u32_e32 v0, s6, v0
	v_cmp_gt_u32_e32 vcc, s13, v0
	v_cmp_gt_u32_e64 s[0:1], s14, v1
	s_and_b64 s[0:1], s[0:1], vcc
	s_and_saveexec_b64 s[2:3], s[0:1]
	s_cbranch_execz .LBB12_14
; %bb.1:
	s_load_dwordx2 s[2:3], s[4:5], 0x34
	s_waitcnt lgkmcnt(0)
	s_cmpk_lt_i32 s2, 0x7a
	s_cbranch_scc1 .LBB12_4
; %bb.2:
	s_cmpk_gt_i32 s2, 0x7a
	s_cbranch_scc0 .LBB12_5
; %bb.3:
	s_cmpk_lg_i32 s2, 0x7b
	s_mov_b64 s[6:7], -1
	s_cselect_b64 s[10:11], -1, 0
	s_cbranch_execz .LBB12_6
	s_branch .LBB12_7
.LBB12_4:
	s_mov_b64 s[10:11], 0
	s_mov_b64 s[6:7], 0
	s_cbranch_execnz .LBB12_8
	s_branch .LBB12_10
.LBB12_5:
	s_mov_b64 s[6:7], 0
	s_mov_b64 s[10:11], 0
.LBB12_6:
	v_cmp_gt_u32_e32 vcc, v0, v1
	v_cmp_le_u32_e64 s[0:1], v0, v1
	s_andn2_b64 s[6:7], s[6:7], exec
	s_and_b64 s[16:17], vcc, exec
	s_andn2_b64 s[10:11], s[10:11], exec
	s_and_b64 s[0:1], s[0:1], exec
	s_or_b64 s[6:7], s[6:7], s[16:17]
	s_or_b64 s[10:11], s[10:11], s[0:1]
.LBB12_7:
	s_branch .LBB12_10
.LBB12_8:
	s_cmpk_eq_i32 s2, 0x79
	s_mov_b64 s[10:11], -1
	s_cbranch_scc0 .LBB12_10
; %bb.9:
	v_cmp_gt_u32_e32 vcc, v1, v0
	v_cmp_le_u32_e64 s[0:1], v1, v0
	s_andn2_b64 s[6:7], s[6:7], exec
	s_and_b64 s[10:11], vcc, exec
	s_or_b64 s[6:7], s[6:7], s[10:11]
	s_orn2_b64 s[10:11], s[0:1], exec
.LBB12_10:
	s_and_saveexec_b64 s[0:1], s[10:11]
; %bb.11:
	s_cmpk_eq_i32 s3, 0x83
	s_cselect_b64 s[2:3], -1, 0
	v_cmp_eq_u32_e32 vcc, v0, v1
	s_and_b64 s[2:3], s[2:3], vcc
	s_andn2_b64 s[6:7], s[6:7], exec
	s_and_b64 s[2:3], s[2:3], exec
	s_or_b64 s[6:7], s[6:7], s[2:3]
; %bb.12:
	s_or_b64 exec, exec, s[0:1]
	s_and_b64 exec, exec, s[6:7]
	s_cbranch_execz .LBB12_14
; %bb.13:
	s_load_dwordx8 s[0:7], s[4:5], 0x10
	s_ashr_i32 s9, s13, 31
	s_ashr_i32 s15, s14, 31
	s_mul_i32 s9, s9, s8
	s_waitcnt lgkmcnt(0)
	s_ashr_i32 s11, s2, 31
	s_mov_b32 s10, s2
	s_mul_i32 s2, s8, s5
	s_mul_hi_u32 s5, s8, s4
	s_add_i32 s5, s5, s2
	s_mul_i32 s4, s8, s4
	s_lshl_b64 s[4:5], s[4:5], 2
	s_add_u32 s2, s0, s4
	s_addc_u32 s4, s1, s5
	s_lshl_b64 s[0:1], s[10:11], 2
	s_add_u32 s2, s2, s0
	s_mul_hi_u32 s0, s13, s8
	s_mul_i32 s5, s13, s8
	s_addc_u32 s4, s4, s1
	s_add_i32 s0, s0, s9
	s_mul_i32 s1, s5, s15
	s_mul_hi_u32 s8, s5, s14
	s_add_i32 s1, s8, s1
	s_mul_i32 s0, s0, s14
	s_add_i32 s1, s1, s0
	s_mul_i32 s0, s5, s14
	s_lshl_b64 s[0:1], s[0:1], 2
	s_add_u32 s5, s6, s0
	s_addc_u32 s6, s7, s1
	s_cmp_eq_u32 s12, 0
	s_cselect_b32 s0, s3, s13
	v_mad_u64_u32 v[2:3], s[0:1], v1, s0, v[0:1]
	v_mov_b32_e32 v3, 0
	s_cselect_b32 s7, s4, s6
	s_cselect_b32 s8, s2, s5
	v_lshlrev_b64 v[4:5], 2, v[2:3]
	v_mov_b32_e32 v2, s7
	v_add_co_u32_e32 v4, vcc, s8, v4
	v_addc_co_u32_e32 v5, vcc, v2, v5, vcc
	global_load_dword v2, v[4:5], off
	s_cselect_b32 s0, s13, s3
	v_mad_u64_u32 v[0:1], s[0:1], v1, s0, v[0:1]
	v_mov_b32_e32 v1, v3
	s_cselect_b32 s3, s6, s4
	s_cselect_b32 s2, s5, s2
	v_lshlrev_b64 v[0:1], 2, v[0:1]
	v_mov_b32_e32 v3, s3
	v_add_co_u32_e32 v0, vcc, s2, v0
	v_addc_co_u32_e32 v1, vcc, v3, v1, vcc
	s_waitcnt vmcnt(0)
	global_store_dword v[0:1], v2, off
.LBB12_14:
	s_endpgm
	.section	.rodata,"a",@progbits
	.p2align	6, 0x0
	.amdhsa_kernel _ZN9rocsolver6v33100L8copy_matIfPfNS0_7no_maskEEEvNS0_17copymat_directionEiiT0_iilPT_T1_13rocblas_fill_17rocblas_diagonal_
		.amdhsa_group_segment_fixed_size 0
		.amdhsa_private_segment_fixed_size 0
		.amdhsa_kernarg_size 320
		.amdhsa_user_sgpr_count 6
		.amdhsa_user_sgpr_private_segment_buffer 1
		.amdhsa_user_sgpr_dispatch_ptr 0
		.amdhsa_user_sgpr_queue_ptr 0
		.amdhsa_user_sgpr_kernarg_segment_ptr 1
		.amdhsa_user_sgpr_dispatch_id 0
		.amdhsa_user_sgpr_flat_scratch_init 0
		.amdhsa_user_sgpr_kernarg_preload_length 0
		.amdhsa_user_sgpr_kernarg_preload_offset 0
		.amdhsa_user_sgpr_private_segment_size 0
		.amdhsa_uses_dynamic_stack 0
		.amdhsa_system_sgpr_private_segment_wavefront_offset 0
		.amdhsa_system_sgpr_workgroup_id_x 1
		.amdhsa_system_sgpr_workgroup_id_y 1
		.amdhsa_system_sgpr_workgroup_id_z 1
		.amdhsa_system_sgpr_workgroup_info 0
		.amdhsa_system_vgpr_workitem_id 1
		.amdhsa_next_free_vgpr 6
		.amdhsa_next_free_sgpr 18
		.amdhsa_accum_offset 8
		.amdhsa_reserve_vcc 1
		.amdhsa_reserve_flat_scratch 0
		.amdhsa_float_round_mode_32 0
		.amdhsa_float_round_mode_16_64 0
		.amdhsa_float_denorm_mode_32 3
		.amdhsa_float_denorm_mode_16_64 3
		.amdhsa_dx10_clamp 1
		.amdhsa_ieee_mode 1
		.amdhsa_fp16_overflow 0
		.amdhsa_tg_split 0
		.amdhsa_exception_fp_ieee_invalid_op 0
		.amdhsa_exception_fp_denorm_src 0
		.amdhsa_exception_fp_ieee_div_zero 0
		.amdhsa_exception_fp_ieee_overflow 0
		.amdhsa_exception_fp_ieee_underflow 0
		.amdhsa_exception_fp_ieee_inexact 0
		.amdhsa_exception_int_div_zero 0
	.end_amdhsa_kernel
	.section	.text._ZN9rocsolver6v33100L8copy_matIfPfNS0_7no_maskEEEvNS0_17copymat_directionEiiT0_iilPT_T1_13rocblas_fill_17rocblas_diagonal_,"axG",@progbits,_ZN9rocsolver6v33100L8copy_matIfPfNS0_7no_maskEEEvNS0_17copymat_directionEiiT0_iilPT_T1_13rocblas_fill_17rocblas_diagonal_,comdat
.Lfunc_end12:
	.size	_ZN9rocsolver6v33100L8copy_matIfPfNS0_7no_maskEEEvNS0_17copymat_directionEiiT0_iilPT_T1_13rocblas_fill_17rocblas_diagonal_, .Lfunc_end12-_ZN9rocsolver6v33100L8copy_matIfPfNS0_7no_maskEEEvNS0_17copymat_directionEiiT0_iilPT_T1_13rocblas_fill_17rocblas_diagonal_
                                        ; -- End function
	.section	.AMDGPU.csdata,"",@progbits
; Kernel info:
; codeLenInByte = 520
; NumSgprs: 22
; NumVgprs: 6
; NumAgprs: 0
; TotalNumVgprs: 6
; ScratchSize: 0
; MemoryBound: 0
; FloatMode: 240
; IeeeMode: 1
; LDSByteSize: 0 bytes/workgroup (compile time only)
; SGPRBlocks: 2
; VGPRBlocks: 0
; NumSGPRsForWavesPerEU: 22
; NumVGPRsForWavesPerEU: 6
; AccumOffset: 8
; Occupancy: 8
; WaveLimiterHint : 0
; COMPUTE_PGM_RSRC2:SCRATCH_EN: 0
; COMPUTE_PGM_RSRC2:USER_SGPR: 6
; COMPUTE_PGM_RSRC2:TRAP_HANDLER: 0
; COMPUTE_PGM_RSRC2:TGID_X_EN: 1
; COMPUTE_PGM_RSRC2:TGID_Y_EN: 1
; COMPUTE_PGM_RSRC2:TGID_Z_EN: 1
; COMPUTE_PGM_RSRC2:TIDIG_COMP_CNT: 1
; COMPUTE_PGM_RSRC3_GFX90A:ACCUM_OFFSET: 1
; COMPUTE_PGM_RSRC3_GFX90A:TG_SPLIT: 0
	.text
	.p2align	2                               ; -- Begin function __ockl_fprintf_append_string_n
	.type	__ockl_fprintf_append_string_n,@function
__ockl_fprintf_append_string_n:         ; @__ockl_fprintf_append_string_n
; %bb.0:
	s_waitcnt vmcnt(0) expcnt(0) lgkmcnt(0)
	v_mov_b32_e32 v9, v3
	v_mov_b32_e32 v8, v2
	v_or_b32_e32 v2, 2, v0
	v_cmp_eq_u32_e32 vcc, 0, v6
	s_mov_b32 s22, 0
	v_cndmask_b32_e32 v0, v2, v0, vcc
	s_mov_b64 s[6:7], 0
	v_cmp_ne_u64_e32 vcc, 0, v[8:9]
	v_mbcnt_lo_u32_b32 v2, -1, 0
	s_and_saveexec_b64 s[4:5], vcc
	s_xor_b64 s[10:11], exec, s[4:5]
	s_cbranch_execz .LBB13_86
; %bb.1:
	s_load_dwordx2 s[12:13], s[8:9], 0x50
	v_and_b32_e32 v6, 2, v0
	v_mov_b32_e32 v31, 0
	v_and_b32_e32 v0, -3, v0
	v_mbcnt_hi_u32_b32 v32, -1, v2
	s_movk_i32 s23, 0xff1f
	v_mov_b32_e32 v12, 2
	v_mov_b32_e32 v13, 1
	s_branch .LBB13_3
.LBB13_2:                               ;   in Loop: Header=BB13_3 Depth=1
	s_or_b64 exec, exec, s[16:17]
	v_sub_co_u32_e32 v4, vcc, v4, v34
	v_subb_co_u32_e32 v5, vcc, v5, v35, vcc
	v_cmp_eq_u64_e32 vcc, 0, v[4:5]
	s_or_b64 s[6:7], vcc, s[6:7]
	v_add_co_u32_e32 v8, vcc, v8, v34
	v_addc_co_u32_e32 v9, vcc, v9, v35, vcc
	s_andn2_b64 exec, exec, s[6:7]
	s_cbranch_execz .LBB13_85
.LBB13_3:                               ; =>This Loop Header: Depth=1
                                        ;     Child Loop BB13_6 Depth 2
                                        ;     Child Loop BB13_14 Depth 2
	;; [unrolled: 1-line block ×11, first 2 shown]
	v_cmp_gt_u64_e32 vcc, 56, v[4:5]
	v_cndmask_b32_e32 v35, 0, v5, vcc
	v_cndmask_b32_e32 v34, 56, v4, vcc
	v_cmp_gt_u64_e32 vcc, 8, v[4:5]
                                        ; implicit-def: $vgpr2_vgpr3
                                        ; implicit-def: $sgpr14
	s_and_saveexec_b64 s[4:5], vcc
	s_xor_b64 s[4:5], exec, s[4:5]
	s_cbranch_execz .LBB13_9
; %bb.4:                                ;   in Loop: Header=BB13_3 Depth=1
	s_mov_b64 s[16:17], 0
	v_cmp_ne_u64_e32 vcc, 0, v[4:5]
	s_waitcnt vmcnt(0)
	v_pk_mov_b32 v[2:3], 0, 0
	s_and_saveexec_b64 s[14:15], vcc
	s_cbranch_execz .LBB13_8
; %bb.5:                                ;   in Loop: Header=BB13_3 Depth=1
	v_lshlrev_b64 v[10:11], 3, v[34:35]
	v_pk_mov_b32 v[2:3], 0, 0
	v_pk_mov_b32 v[14:15], v[8:9], v[8:9] op_sel:[0,1]
	s_mov_b64 s[18:19], 0
.LBB13_6:                               ;   Parent Loop BB13_3 Depth=1
                                        ; =>  This Inner Loop Header: Depth=2
	flat_load_ubyte v7, v[14:15]
	v_mov_b32_e32 v17, s22
	v_add_co_u32_e32 v14, vcc, 1, v14
	v_addc_co_u32_e32 v15, vcc, 0, v15, vcc
	s_waitcnt vmcnt(0) lgkmcnt(0)
	v_and_b32_e32 v16, 0xffff, v7
	v_lshlrev_b64 v[16:17], s18, v[16:17]
	s_add_u32 s18, s18, 8
	s_addc_u32 s19, s19, 0
	v_cmp_eq_u32_e32 vcc, s18, v10
	v_or_b32_e32 v3, v17, v3
	s_or_b64 s[16:17], vcc, s[16:17]
	v_or_b32_e32 v2, v16, v2
	s_andn2_b64 exec, exec, s[16:17]
	s_cbranch_execnz .LBB13_6
; %bb.7:                                ;   in Loop: Header=BB13_3 Depth=1
	s_or_b64 exec, exec, s[16:17]
.LBB13_8:                               ;   in Loop: Header=BB13_3 Depth=1
	s_or_b64 exec, exec, s[14:15]
	s_mov_b32 s14, 0
.LBB13_9:                               ;   in Loop: Header=BB13_3 Depth=1
	s_or_saveexec_b64 s[4:5], s[4:5]
	v_mov_b32_e32 v7, s14
	v_pk_mov_b32 v[10:11], v[8:9], v[8:9] op_sel:[0,1]
	s_xor_b64 exec, exec, s[4:5]
	s_cbranch_execz .LBB13_11
; %bb.10:                               ;   in Loop: Header=BB13_3 Depth=1
	s_waitcnt vmcnt(0)
	flat_load_dwordx2 v[2:3], v[8:9]
	v_add_u32_e32 v7, -8, v34
	s_waitcnt vmcnt(0) lgkmcnt(0)
	v_and_b32_e32 v10, 0xff, v3
	v_and_b32_e32 v11, 0xff00, v3
	;; [unrolled: 1-line block ×4, first 2 shown]
	v_or_b32_e32 v10, v10, v11
	v_or3_b32 v3, v10, v14, v3
	v_add_co_u32_e32 v10, vcc, 8, v8
	v_or3_b32 v2, v2, 0, 0
	v_addc_co_u32_e32 v11, vcc, 0, v9, vcc
.LBB13_11:                              ;   in Loop: Header=BB13_3 Depth=1
	s_or_b64 exec, exec, s[4:5]
	v_cmp_gt_u32_e32 vcc, 8, v7
                                        ; implicit-def: $vgpr14_vgpr15
                                        ; implicit-def: $sgpr14
	s_and_saveexec_b64 s[4:5], vcc
	s_xor_b64 s[4:5], exec, s[4:5]
	s_cbranch_execz .LBB13_17
; %bb.12:                               ;   in Loop: Header=BB13_3 Depth=1
	v_cmp_ne_u32_e32 vcc, 0, v7
	v_pk_mov_b32 v[14:15], 0, 0
	s_and_saveexec_b64 s[14:15], vcc
	s_cbranch_execz .LBB13_16
; %bb.13:                               ;   in Loop: Header=BB13_3 Depth=1
	s_mov_b64 s[16:17], 0
	v_pk_mov_b32 v[14:15], 0, 0
	s_mov_b64 s[18:19], 0
	s_mov_b64 s[20:21], 0
.LBB13_14:                              ;   Parent Loop BB13_3 Depth=1
                                        ; =>  This Inner Loop Header: Depth=2
	v_mov_b32_e32 v17, s21
	v_add_co_u32_e32 v16, vcc, s20, v10
	v_addc_co_u32_e32 v17, vcc, v11, v17, vcc
	flat_load_ubyte v16, v[16:17]
	s_add_u32 s20, s20, 1
	v_mov_b32_e32 v17, s22
	s_addc_u32 s21, s21, 0
	v_cmp_eq_u32_e32 vcc, s20, v7
	s_waitcnt vmcnt(0) lgkmcnt(0)
	v_and_b32_e32 v16, 0xffff, v16
	v_lshlrev_b64 v[16:17], s18, v[16:17]
	s_add_u32 s18, s18, 8
	s_addc_u32 s19, s19, 0
	v_or_b32_e32 v15, v17, v15
	s_or_b64 s[16:17], vcc, s[16:17]
	v_or_b32_e32 v14, v16, v14
	s_andn2_b64 exec, exec, s[16:17]
	s_cbranch_execnz .LBB13_14
; %bb.15:                               ;   in Loop: Header=BB13_3 Depth=1
	s_or_b64 exec, exec, s[16:17]
.LBB13_16:                              ;   in Loop: Header=BB13_3 Depth=1
	s_or_b64 exec, exec, s[14:15]
	s_mov_b32 s14, 0
                                        ; implicit-def: $vgpr7
.LBB13_17:                              ;   in Loop: Header=BB13_3 Depth=1
	s_or_saveexec_b64 s[4:5], s[4:5]
	v_mov_b32_e32 v18, s14
	s_xor_b64 exec, exec, s[4:5]
	s_cbranch_execz .LBB13_19
; %bb.18:                               ;   in Loop: Header=BB13_3 Depth=1
	flat_load_dwordx2 v[14:15], v[10:11]
	v_add_u32_e32 v18, -8, v7
	v_add_co_u32_e32 v10, vcc, 8, v10
	v_addc_co_u32_e32 v11, vcc, 0, v11, vcc
	s_waitcnt vmcnt(0) lgkmcnt(0)
	v_and_b32_e32 v7, 0xff, v15
	v_and_b32_e32 v16, 0xff00, v15
	;; [unrolled: 1-line block ×4, first 2 shown]
	v_or_b32_e32 v7, v7, v16
	v_or3_b32 v14, v14, 0, 0
	v_or3_b32 v15, v7, v17, v15
.LBB13_19:                              ;   in Loop: Header=BB13_3 Depth=1
	s_or_b64 exec, exec, s[4:5]
	v_cmp_gt_u32_e32 vcc, 8, v18
                                        ; implicit-def: $sgpr14
	s_and_saveexec_b64 s[4:5], vcc
	s_xor_b64 s[4:5], exec, s[4:5]
	s_cbranch_execz .LBB13_25
; %bb.20:                               ;   in Loop: Header=BB13_3 Depth=1
	v_cmp_ne_u32_e32 vcc, 0, v18
	v_pk_mov_b32 v[16:17], 0, 0
	s_and_saveexec_b64 s[14:15], vcc
	s_cbranch_execz .LBB13_24
; %bb.21:                               ;   in Loop: Header=BB13_3 Depth=1
	s_mov_b64 s[16:17], 0
	v_pk_mov_b32 v[16:17], 0, 0
	s_mov_b64 s[18:19], 0
	s_mov_b64 s[20:21], 0
.LBB13_22:                              ;   Parent Loop BB13_3 Depth=1
                                        ; =>  This Inner Loop Header: Depth=2
	v_mov_b32_e32 v7, s21
	v_add_co_u32_e32 v20, vcc, s20, v10
	v_addc_co_u32_e32 v21, vcc, v11, v7, vcc
	flat_load_ubyte v7, v[20:21]
	s_add_u32 s20, s20, 1
	v_mov_b32_e32 v21, s22
	s_addc_u32 s21, s21, 0
	v_cmp_eq_u32_e32 vcc, s20, v18
	s_waitcnt vmcnt(0) lgkmcnt(0)
	v_and_b32_e32 v20, 0xffff, v7
	v_lshlrev_b64 v[20:21], s18, v[20:21]
	s_add_u32 s18, s18, 8
	s_addc_u32 s19, s19, 0
	v_or_b32_e32 v17, v21, v17
	s_or_b64 s[16:17], vcc, s[16:17]
	v_or_b32_e32 v16, v20, v16
	s_andn2_b64 exec, exec, s[16:17]
	s_cbranch_execnz .LBB13_22
; %bb.23:                               ;   in Loop: Header=BB13_3 Depth=1
	s_or_b64 exec, exec, s[16:17]
.LBB13_24:                              ;   in Loop: Header=BB13_3 Depth=1
	s_or_b64 exec, exec, s[14:15]
	s_mov_b32 s14, 0
                                        ; implicit-def: $vgpr18
.LBB13_25:                              ;   in Loop: Header=BB13_3 Depth=1
	s_or_saveexec_b64 s[4:5], s[4:5]
	v_mov_b32_e32 v7, s14
	s_xor_b64 exec, exec, s[4:5]
	s_cbranch_execz .LBB13_27
; %bb.26:                               ;   in Loop: Header=BB13_3 Depth=1
	flat_load_dwordx2 v[16:17], v[10:11]
	v_add_u32_e32 v7, -8, v18
	v_add_co_u32_e32 v10, vcc, 8, v10
	v_addc_co_u32_e32 v11, vcc, 0, v11, vcc
	s_waitcnt vmcnt(0) lgkmcnt(0)
	v_and_b32_e32 v18, 0xff, v17
	v_and_b32_e32 v19, 0xff00, v17
	;; [unrolled: 1-line block ×4, first 2 shown]
	v_or_b32_e32 v18, v18, v19
	v_or3_b32 v16, v16, 0, 0
	v_or3_b32 v17, v18, v20, v17
.LBB13_27:                              ;   in Loop: Header=BB13_3 Depth=1
	s_or_b64 exec, exec, s[4:5]
	v_cmp_gt_u32_e32 vcc, 8, v7
                                        ; implicit-def: $vgpr18_vgpr19
                                        ; implicit-def: $sgpr14
	s_and_saveexec_b64 s[4:5], vcc
	s_xor_b64 s[4:5], exec, s[4:5]
	s_cbranch_execz .LBB13_33
; %bb.28:                               ;   in Loop: Header=BB13_3 Depth=1
	v_cmp_ne_u32_e32 vcc, 0, v7
	v_pk_mov_b32 v[18:19], 0, 0
	s_and_saveexec_b64 s[14:15], vcc
	s_cbranch_execz .LBB13_32
; %bb.29:                               ;   in Loop: Header=BB13_3 Depth=1
	s_mov_b64 s[16:17], 0
	v_pk_mov_b32 v[18:19], 0, 0
	s_mov_b64 s[18:19], 0
	s_mov_b64 s[20:21], 0
.LBB13_30:                              ;   Parent Loop BB13_3 Depth=1
                                        ; =>  This Inner Loop Header: Depth=2
	v_mov_b32_e32 v21, s21
	v_add_co_u32_e32 v20, vcc, s20, v10
	v_addc_co_u32_e32 v21, vcc, v11, v21, vcc
	flat_load_ubyte v20, v[20:21]
	s_add_u32 s20, s20, 1
	v_mov_b32_e32 v21, s22
	s_addc_u32 s21, s21, 0
	v_cmp_eq_u32_e32 vcc, s20, v7
	s_waitcnt vmcnt(0) lgkmcnt(0)
	v_and_b32_e32 v20, 0xffff, v20
	v_lshlrev_b64 v[20:21], s18, v[20:21]
	s_add_u32 s18, s18, 8
	s_addc_u32 s19, s19, 0
	v_or_b32_e32 v19, v21, v19
	s_or_b64 s[16:17], vcc, s[16:17]
	v_or_b32_e32 v18, v20, v18
	s_andn2_b64 exec, exec, s[16:17]
	s_cbranch_execnz .LBB13_30
; %bb.31:                               ;   in Loop: Header=BB13_3 Depth=1
	s_or_b64 exec, exec, s[16:17]
.LBB13_32:                              ;   in Loop: Header=BB13_3 Depth=1
	s_or_b64 exec, exec, s[14:15]
	s_mov_b32 s14, 0
                                        ; implicit-def: $vgpr7
.LBB13_33:                              ;   in Loop: Header=BB13_3 Depth=1
	s_or_saveexec_b64 s[4:5], s[4:5]
	v_mov_b32_e32 v22, s14
	s_xor_b64 exec, exec, s[4:5]
	s_cbranch_execz .LBB13_35
; %bb.34:                               ;   in Loop: Header=BB13_3 Depth=1
	flat_load_dwordx2 v[18:19], v[10:11]
	v_add_u32_e32 v22, -8, v7
	v_add_co_u32_e32 v10, vcc, 8, v10
	v_addc_co_u32_e32 v11, vcc, 0, v11, vcc
	s_waitcnt vmcnt(0) lgkmcnt(0)
	v_and_b32_e32 v7, 0xff, v19
	v_and_b32_e32 v20, 0xff00, v19
	v_and_b32_e32 v21, 0xff0000, v19
	v_and_b32_e32 v19, 0xff000000, v19
	v_or_b32_e32 v7, v7, v20
	v_or3_b32 v18, v18, 0, 0
	v_or3_b32 v19, v7, v21, v19
.LBB13_35:                              ;   in Loop: Header=BB13_3 Depth=1
	s_or_b64 exec, exec, s[4:5]
	v_cmp_gt_u32_e32 vcc, 8, v22
                                        ; implicit-def: $sgpr14
	s_and_saveexec_b64 s[4:5], vcc
	s_xor_b64 s[4:5], exec, s[4:5]
	s_cbranch_execz .LBB13_41
; %bb.36:                               ;   in Loop: Header=BB13_3 Depth=1
	v_cmp_ne_u32_e32 vcc, 0, v22
	v_pk_mov_b32 v[20:21], 0, 0
	s_and_saveexec_b64 s[14:15], vcc
	s_cbranch_execz .LBB13_40
; %bb.37:                               ;   in Loop: Header=BB13_3 Depth=1
	s_mov_b64 s[16:17], 0
	v_pk_mov_b32 v[20:21], 0, 0
	s_mov_b64 s[18:19], 0
	s_mov_b64 s[20:21], 0
.LBB13_38:                              ;   Parent Loop BB13_3 Depth=1
                                        ; =>  This Inner Loop Header: Depth=2
	v_mov_b32_e32 v7, s21
	v_add_co_u32_e32 v24, vcc, s20, v10
	v_addc_co_u32_e32 v25, vcc, v11, v7, vcc
	flat_load_ubyte v7, v[24:25]
	s_add_u32 s20, s20, 1
	v_mov_b32_e32 v25, s22
	s_addc_u32 s21, s21, 0
	v_cmp_eq_u32_e32 vcc, s20, v22
	s_waitcnt vmcnt(0) lgkmcnt(0)
	v_and_b32_e32 v24, 0xffff, v7
	v_lshlrev_b64 v[24:25], s18, v[24:25]
	s_add_u32 s18, s18, 8
	s_addc_u32 s19, s19, 0
	v_or_b32_e32 v21, v25, v21
	s_or_b64 s[16:17], vcc, s[16:17]
	v_or_b32_e32 v20, v24, v20
	s_andn2_b64 exec, exec, s[16:17]
	s_cbranch_execnz .LBB13_38
; %bb.39:                               ;   in Loop: Header=BB13_3 Depth=1
	s_or_b64 exec, exec, s[16:17]
.LBB13_40:                              ;   in Loop: Header=BB13_3 Depth=1
	s_or_b64 exec, exec, s[14:15]
	s_mov_b32 s14, 0
                                        ; implicit-def: $vgpr22
.LBB13_41:                              ;   in Loop: Header=BB13_3 Depth=1
	s_or_saveexec_b64 s[4:5], s[4:5]
	v_mov_b32_e32 v7, s14
	s_xor_b64 exec, exec, s[4:5]
	s_cbranch_execz .LBB13_43
; %bb.42:                               ;   in Loop: Header=BB13_3 Depth=1
	flat_load_dwordx2 v[20:21], v[10:11]
	v_add_u32_e32 v7, -8, v22
	v_add_co_u32_e32 v10, vcc, 8, v10
	v_addc_co_u32_e32 v11, vcc, 0, v11, vcc
	s_waitcnt vmcnt(0) lgkmcnt(0)
	v_and_b32_e32 v22, 0xff, v21
	v_and_b32_e32 v23, 0xff00, v21
	;; [unrolled: 1-line block ×4, first 2 shown]
	v_or_b32_e32 v22, v22, v23
	v_or3_b32 v20, v20, 0, 0
	v_or3_b32 v21, v22, v24, v21
.LBB13_43:                              ;   in Loop: Header=BB13_3 Depth=1
	s_or_b64 exec, exec, s[4:5]
	v_cmp_gt_u32_e32 vcc, 8, v7
                                        ; implicit-def: $vgpr22_vgpr23
                                        ; implicit-def: $sgpr14
	s_and_saveexec_b64 s[4:5], vcc
	s_xor_b64 s[4:5], exec, s[4:5]
	s_cbranch_execz .LBB13_49
; %bb.44:                               ;   in Loop: Header=BB13_3 Depth=1
	v_cmp_ne_u32_e32 vcc, 0, v7
	v_pk_mov_b32 v[22:23], 0, 0
	s_and_saveexec_b64 s[14:15], vcc
	s_cbranch_execz .LBB13_48
; %bb.45:                               ;   in Loop: Header=BB13_3 Depth=1
	s_mov_b64 s[16:17], 0
	v_pk_mov_b32 v[22:23], 0, 0
	s_mov_b64 s[18:19], 0
	s_mov_b64 s[20:21], 0
.LBB13_46:                              ;   Parent Loop BB13_3 Depth=1
                                        ; =>  This Inner Loop Header: Depth=2
	v_mov_b32_e32 v25, s21
	v_add_co_u32_e32 v24, vcc, s20, v10
	v_addc_co_u32_e32 v25, vcc, v11, v25, vcc
	flat_load_ubyte v24, v[24:25]
	s_add_u32 s20, s20, 1
	v_mov_b32_e32 v25, s22
	s_addc_u32 s21, s21, 0
	v_cmp_eq_u32_e32 vcc, s20, v7
	s_waitcnt vmcnt(0) lgkmcnt(0)
	v_and_b32_e32 v24, 0xffff, v24
	v_lshlrev_b64 v[24:25], s18, v[24:25]
	s_add_u32 s18, s18, 8
	s_addc_u32 s19, s19, 0
	v_or_b32_e32 v23, v25, v23
	s_or_b64 s[16:17], vcc, s[16:17]
	v_or_b32_e32 v22, v24, v22
	s_andn2_b64 exec, exec, s[16:17]
	s_cbranch_execnz .LBB13_46
; %bb.47:                               ;   in Loop: Header=BB13_3 Depth=1
	s_or_b64 exec, exec, s[16:17]
.LBB13_48:                              ;   in Loop: Header=BB13_3 Depth=1
	s_or_b64 exec, exec, s[14:15]
	s_mov_b32 s14, 0
                                        ; implicit-def: $vgpr7
.LBB13_49:                              ;   in Loop: Header=BB13_3 Depth=1
	s_or_saveexec_b64 s[4:5], s[4:5]
	v_mov_b32_e32 v26, s14
	s_xor_b64 exec, exec, s[4:5]
	s_cbranch_execz .LBB13_51
; %bb.50:                               ;   in Loop: Header=BB13_3 Depth=1
	flat_load_dwordx2 v[22:23], v[10:11]
	v_add_u32_e32 v26, -8, v7
	v_add_co_u32_e32 v10, vcc, 8, v10
	v_addc_co_u32_e32 v11, vcc, 0, v11, vcc
	s_waitcnt vmcnt(0) lgkmcnt(0)
	v_and_b32_e32 v7, 0xff, v23
	v_and_b32_e32 v24, 0xff00, v23
	;; [unrolled: 1-line block ×4, first 2 shown]
	v_or_b32_e32 v7, v7, v24
	v_or3_b32 v22, v22, 0, 0
	v_or3_b32 v23, v7, v25, v23
.LBB13_51:                              ;   in Loop: Header=BB13_3 Depth=1
	s_or_b64 exec, exec, s[4:5]
	v_cmp_gt_u32_e32 vcc, 8, v26
	s_and_saveexec_b64 s[4:5], vcc
	s_xor_b64 s[4:5], exec, s[4:5]
	s_cbranch_execz .LBB13_57
; %bb.52:                               ;   in Loop: Header=BB13_3 Depth=1
	v_cmp_ne_u32_e32 vcc, 0, v26
	v_pk_mov_b32 v[24:25], 0, 0
	s_and_saveexec_b64 s[14:15], vcc
	s_cbranch_execz .LBB13_56
; %bb.53:                               ;   in Loop: Header=BB13_3 Depth=1
	s_mov_b64 s[16:17], 0
	v_pk_mov_b32 v[24:25], 0, 0
	s_mov_b64 s[18:19], 0
.LBB13_54:                              ;   Parent Loop BB13_3 Depth=1
                                        ; =>  This Inner Loop Header: Depth=2
	flat_load_ubyte v7, v[10:11]
	v_mov_b32_e32 v29, s22
	v_add_co_u32_e32 v10, vcc, 1, v10
	v_add_u32_e32 v26, -1, v26
	v_addc_co_u32_e32 v11, vcc, 0, v11, vcc
	v_cmp_eq_u32_e32 vcc, 0, v26
	s_waitcnt vmcnt(0) lgkmcnt(0)
	v_and_b32_e32 v28, 0xffff, v7
	v_lshlrev_b64 v[28:29], s18, v[28:29]
	s_add_u32 s18, s18, 8
	s_addc_u32 s19, s19, 0
	v_or_b32_e32 v25, v29, v25
	s_or_b64 s[16:17], vcc, s[16:17]
	v_or_b32_e32 v24, v28, v24
	s_andn2_b64 exec, exec, s[16:17]
	s_cbranch_execnz .LBB13_54
; %bb.55:                               ;   in Loop: Header=BB13_3 Depth=1
	s_or_b64 exec, exec, s[16:17]
.LBB13_56:                              ;   in Loop: Header=BB13_3 Depth=1
	s_or_b64 exec, exec, s[14:15]
                                        ; implicit-def: $vgpr10_vgpr11
.LBB13_57:                              ;   in Loop: Header=BB13_3 Depth=1
	s_andn2_saveexec_b64 s[4:5], s[4:5]
	s_cbranch_execz .LBB13_59
; %bb.58:                               ;   in Loop: Header=BB13_3 Depth=1
	flat_load_dwordx2 v[10:11], v[10:11]
	s_waitcnt vmcnt(0) lgkmcnt(0)
	v_and_b32_e32 v7, 0xff, v11
	v_and_b32_e32 v24, 0xff00, v11
	;; [unrolled: 1-line block ×4, first 2 shown]
	v_or_b32_e32 v7, v7, v24
	v_or3_b32 v25, v7, v25, v11
	v_or3_b32 v24, v10, 0, 0
.LBB13_59:                              ;   in Loop: Header=BB13_3 Depth=1
	s_or_b64 exec, exec, s[4:5]
	v_readfirstlane_b32 s4, v32
	v_cmp_eq_u32_e64 s[4:5], s4, v32
	v_pk_mov_b32 v[10:11], 0, 0
	s_and_saveexec_b64 s[14:15], s[4:5]
	s_cbranch_execz .LBB13_65
; %bb.60:                               ;   in Loop: Header=BB13_3 Depth=1
	s_waitcnt lgkmcnt(0)
	global_load_dwordx2 v[28:29], v31, s[12:13] offset:24 glc
	s_waitcnt vmcnt(0)
	buffer_invl2
	buffer_wbinvl1_vol
	global_load_dwordx2 v[10:11], v31, s[12:13] offset:40
	global_load_dwordx2 v[26:27], v31, s[12:13]
	s_waitcnt vmcnt(1)
	v_and_b32_e32 v7, v10, v28
	v_and_b32_e32 v10, v11, v29
	v_mul_lo_u32 v10, v10, 24
	v_mul_hi_u32 v11, v7, 24
	v_mul_lo_u32 v7, v7, 24
	v_add_u32_e32 v11, v11, v10
	s_waitcnt vmcnt(0)
	v_add_co_u32_e32 v10, vcc, v26, v7
	v_addc_co_u32_e32 v11, vcc, v27, v11, vcc
	global_load_dwordx2 v[26:27], v[10:11], off glc
	s_waitcnt vmcnt(0)
	global_atomic_cmpswap_x2 v[10:11], v31, v[26:29], s[12:13] offset:24 glc
	s_waitcnt vmcnt(0)
	buffer_invl2
	buffer_wbinvl1_vol
	v_cmp_ne_u64_e32 vcc, v[10:11], v[28:29]
	s_and_saveexec_b64 s[16:17], vcc
	s_cbranch_execz .LBB13_64
; %bb.61:                               ;   in Loop: Header=BB13_3 Depth=1
	s_mov_b64 s[18:19], 0
.LBB13_62:                              ;   Parent Loop BB13_3 Depth=1
                                        ; =>  This Inner Loop Header: Depth=2
	s_sleep 1
	global_load_dwordx2 v[26:27], v31, s[12:13] offset:40
	global_load_dwordx2 v[36:37], v31, s[12:13]
	v_pk_mov_b32 v[28:29], v[10:11], v[10:11] op_sel:[0,1]
	s_waitcnt vmcnt(1)
	v_and_b32_e32 v10, v26, v28
	s_waitcnt vmcnt(0)
	v_mad_u64_u32 v[10:11], s[20:21], v10, 24, v[36:37]
	v_and_b32_e32 v7, v27, v29
	v_mov_b32_e32 v26, v11
	v_mad_u64_u32 v[26:27], s[20:21], v7, 24, v[26:27]
	v_mov_b32_e32 v11, v26
	global_load_dwordx2 v[26:27], v[10:11], off glc
	s_waitcnt vmcnt(0)
	global_atomic_cmpswap_x2 v[10:11], v31, v[26:29], s[12:13] offset:24 glc
	s_waitcnt vmcnt(0)
	buffer_invl2
	buffer_wbinvl1_vol
	v_cmp_eq_u64_e32 vcc, v[10:11], v[28:29]
	s_or_b64 s[18:19], vcc, s[18:19]
	s_andn2_b64 exec, exec, s[18:19]
	s_cbranch_execnz .LBB13_62
; %bb.63:                               ;   in Loop: Header=BB13_3 Depth=1
	s_or_b64 exec, exec, s[18:19]
.LBB13_64:                              ;   in Loop: Header=BB13_3 Depth=1
	s_or_b64 exec, exec, s[16:17]
.LBB13_65:                              ;   in Loop: Header=BB13_3 Depth=1
	s_or_b64 exec, exec, s[14:15]
	s_waitcnt lgkmcnt(0)
	global_load_dwordx2 v[36:37], v31, s[12:13] offset:40
	global_load_dwordx4 v[26:29], v31, s[12:13]
	v_readfirstlane_b32 s14, v10
	v_readfirstlane_b32 s15, v11
	s_mov_b64 s[16:17], exec
	s_waitcnt vmcnt(1)
	v_readfirstlane_b32 s18, v36
	v_readfirstlane_b32 s19, v37
	s_and_b64 s[18:19], s[14:15], s[18:19]
	s_mul_i32 s20, s19, 24
	s_mul_hi_u32 s21, s18, 24
	s_mul_i32 s24, s18, 24
	s_add_i32 s20, s21, s20
	v_mov_b32_e32 v7, s20
	s_waitcnt vmcnt(0)
	v_add_co_u32_e32 v36, vcc, s24, v26
	v_addc_co_u32_e32 v37, vcc, v27, v7, vcc
	s_and_saveexec_b64 s[20:21], s[4:5]
	s_cbranch_execz .LBB13_67
; %bb.66:                               ;   in Loop: Header=BB13_3 Depth=1
	v_pk_mov_b32 v[10:11], s[16:17], s[16:17] op_sel:[0,1]
	global_store_dwordx4 v[36:37], v[10:13], off offset:8
.LBB13_67:                              ;   in Loop: Header=BB13_3 Depth=1
	s_or_b64 exec, exec, s[20:21]
	s_lshl_b64 s[16:17], s[18:19], 12
	v_mov_b32_e32 v7, s17
	v_add_co_u32_e32 v10, vcc, s16, v28
	v_addc_co_u32_e32 v7, vcc, v29, v7, vcc
	v_or_b32_e32 v11, 0, v1
	v_cmp_lt_u64_e32 vcc, 56, v[4:5]
	v_or_b32_e32 v28, v0, v6
	v_cndmask_b32_e32 v1, v11, v1, vcc
	v_lshl_add_u32 v11, v34, 2, 28
	v_cndmask_b32_e32 v0, v28, v0, vcc
	v_and_b32_e32 v11, 0x1e0, v11
	v_and_or_b32 v0, v0, s23, v11
	v_lshlrev_b32_e32 v11, 6, v32
	v_readfirstlane_b32 s16, v10
	v_readfirstlane_b32 s17, v7
	s_nop 4
	global_store_dwordx4 v11, v[0:3], s[16:17]
	global_store_dwordx4 v11, v[14:17], s[16:17] offset:16
	global_store_dwordx4 v11, v[18:21], s[16:17] offset:32
	;; [unrolled: 1-line block ×3, first 2 shown]
	s_and_saveexec_b64 s[16:17], s[4:5]
	s_cbranch_execz .LBB13_75
; %bb.68:                               ;   in Loop: Header=BB13_3 Depth=1
	global_load_dwordx2 v[18:19], v31, s[12:13] offset:32 glc
	global_load_dwordx2 v[0:1], v31, s[12:13] offset:40
	v_mov_b32_e32 v16, s14
	v_mov_b32_e32 v17, s15
	s_waitcnt vmcnt(0)
	v_readfirstlane_b32 s18, v0
	v_readfirstlane_b32 s19, v1
	s_and_b64 s[18:19], s[18:19], s[14:15]
	s_mul_i32 s19, s19, 24
	s_mul_hi_u32 s20, s18, 24
	s_mul_i32 s18, s18, 24
	s_add_i32 s19, s20, s19
	v_mov_b32_e32 v0, s19
	v_add_co_u32_e32 v14, vcc, s18, v26
	v_addc_co_u32_e32 v15, vcc, v27, v0, vcc
	global_store_dwordx2 v[14:15], v[18:19], off
	buffer_wbl2
	s_waitcnt vmcnt(0)
	global_atomic_cmpswap_x2 v[2:3], v31, v[16:19], s[12:13] offset:32 glc
	s_waitcnt vmcnt(0)
	v_cmp_ne_u64_e32 vcc, v[2:3], v[18:19]
	s_and_saveexec_b64 s[18:19], vcc
	s_cbranch_execz .LBB13_71
; %bb.69:                               ;   in Loop: Header=BB13_3 Depth=1
	s_mov_b64 s[20:21], 0
.LBB13_70:                              ;   Parent Loop BB13_3 Depth=1
                                        ; =>  This Inner Loop Header: Depth=2
	s_sleep 1
	global_store_dwordx2 v[14:15], v[2:3], off
	v_mov_b32_e32 v0, s14
	v_mov_b32_e32 v1, s15
	buffer_wbl2
	s_waitcnt vmcnt(0)
	global_atomic_cmpswap_x2 v[0:1], v31, v[0:3], s[12:13] offset:32 glc
	s_waitcnt vmcnt(0)
	v_cmp_eq_u64_e32 vcc, v[0:1], v[2:3]
	s_or_b64 s[20:21], vcc, s[20:21]
	v_pk_mov_b32 v[2:3], v[0:1], v[0:1] op_sel:[0,1]
	s_andn2_b64 exec, exec, s[20:21]
	s_cbranch_execnz .LBB13_70
.LBB13_71:                              ;   in Loop: Header=BB13_3 Depth=1
	s_or_b64 exec, exec, s[18:19]
	global_load_dwordx2 v[0:1], v31, s[12:13] offset:16
	s_mov_b64 s[20:21], exec
	v_mbcnt_lo_u32_b32 v2, s20, 0
	v_mbcnt_hi_u32_b32 v2, s21, v2
	v_cmp_eq_u32_e32 vcc, 0, v2
	s_and_saveexec_b64 s[18:19], vcc
	s_cbranch_execz .LBB13_73
; %bb.72:                               ;   in Loop: Header=BB13_3 Depth=1
	s_bcnt1_i32_b64 s20, s[20:21]
	v_mov_b32_e32 v30, s20
	buffer_wbl2
	s_waitcnt vmcnt(0)
	global_atomic_add_x2 v[0:1], v[30:31], off offset:8
.LBB13_73:                              ;   in Loop: Header=BB13_3 Depth=1
	s_or_b64 exec, exec, s[18:19]
	s_waitcnt vmcnt(0)
	global_load_dwordx2 v[2:3], v[0:1], off offset:16
	s_waitcnt vmcnt(0)
	v_cmp_eq_u64_e32 vcc, 0, v[2:3]
	s_cbranch_vccnz .LBB13_75
; %bb.74:                               ;   in Loop: Header=BB13_3 Depth=1
	global_load_dword v30, v[0:1], off offset:24
	s_waitcnt vmcnt(0)
	v_and_b32_e32 v0, 0xffffff, v30
	v_readfirstlane_b32 m0, v0
	buffer_wbl2
	global_store_dwordx2 v[2:3], v[30:31], off
	s_sendmsg sendmsg(MSG_INTERRUPT)
.LBB13_75:                              ;   in Loop: Header=BB13_3 Depth=1
	s_or_b64 exec, exec, s[16:17]
	v_add_co_u32_e32 v0, vcc, v10, v11
	v_addc_co_u32_e32 v1, vcc, 0, v7, vcc
	s_branch .LBB13_79
.LBB13_76:                              ;   in Loop: Header=BB13_79 Depth=2
	s_or_b64 exec, exec, s[16:17]
	v_readfirstlane_b32 s16, v2
	s_cmp_eq_u32 s16, 0
	s_cbranch_scc1 .LBB13_78
; %bb.77:                               ;   in Loop: Header=BB13_79 Depth=2
	s_sleep 1
	s_cbranch_execnz .LBB13_79
	s_branch .LBB13_81
.LBB13_78:                              ;   in Loop: Header=BB13_3 Depth=1
	s_branch .LBB13_81
.LBB13_79:                              ;   Parent Loop BB13_3 Depth=1
                                        ; =>  This Inner Loop Header: Depth=2
	v_mov_b32_e32 v2, 1
	s_and_saveexec_b64 s[16:17], s[4:5]
	s_cbranch_execz .LBB13_76
; %bb.80:                               ;   in Loop: Header=BB13_79 Depth=2
	global_load_dword v2, v[36:37], off offset:20 glc
	s_waitcnt vmcnt(0)
	buffer_invl2
	buffer_wbinvl1_vol
	v_and_b32_e32 v2, 1, v2
	s_branch .LBB13_76
.LBB13_81:                              ;   in Loop: Header=BB13_3 Depth=1
	global_load_dwordx4 v[0:3], v[0:1], off
	s_and_saveexec_b64 s[16:17], s[4:5]
	s_cbranch_execz .LBB13_2
; %bb.82:                               ;   in Loop: Header=BB13_3 Depth=1
	global_load_dwordx2 v[2:3], v31, s[12:13] offset:40
	global_load_dwordx2 v[10:11], v31, s[12:13] offset:24 glc
	global_load_dwordx2 v[18:19], v31, s[12:13]
	v_mov_b32_e32 v7, s15
	s_waitcnt vmcnt(2)
	v_add_co_u32_e32 v17, vcc, 1, v2
	v_addc_co_u32_e32 v20, vcc, 0, v3, vcc
	v_add_co_u32_e32 v14, vcc, s14, v17
	v_addc_co_u32_e32 v15, vcc, v20, v7, vcc
	v_cmp_eq_u64_e32 vcc, 0, v[14:15]
	v_cndmask_b32_e32 v15, v15, v20, vcc
	v_cndmask_b32_e32 v14, v14, v17, vcc
	v_and_b32_e32 v3, v15, v3
	v_and_b32_e32 v2, v14, v2
	v_mul_lo_u32 v3, v3, 24
	v_mul_hi_u32 v7, v2, 24
	v_mul_lo_u32 v2, v2, 24
	v_add_u32_e32 v3, v7, v3
	s_waitcnt vmcnt(0)
	v_add_co_u32_e32 v2, vcc, v18, v2
	v_addc_co_u32_e32 v3, vcc, v19, v3, vcc
	v_mov_b32_e32 v16, v10
	global_store_dwordx2 v[2:3], v[10:11], off
	v_mov_b32_e32 v17, v11
	buffer_wbl2
	s_waitcnt vmcnt(0)
	global_atomic_cmpswap_x2 v[16:17], v31, v[14:17], s[12:13] offset:24 glc
	s_waitcnt vmcnt(0)
	v_cmp_ne_u64_e32 vcc, v[16:17], v[10:11]
	s_and_b64 exec, exec, vcc
	s_cbranch_execz .LBB13_2
; %bb.83:                               ;   in Loop: Header=BB13_3 Depth=1
	s_mov_b64 s[4:5], 0
.LBB13_84:                              ;   Parent Loop BB13_3 Depth=1
                                        ; =>  This Inner Loop Header: Depth=2
	s_sleep 1
	global_store_dwordx2 v[2:3], v[16:17], off
	buffer_wbl2
	s_waitcnt vmcnt(0)
	global_atomic_cmpswap_x2 v[10:11], v31, v[14:17], s[12:13] offset:24 glc
	s_waitcnt vmcnt(0)
	v_cmp_eq_u64_e32 vcc, v[10:11], v[16:17]
	s_or_b64 s[4:5], vcc, s[4:5]
	v_pk_mov_b32 v[16:17], v[10:11], v[10:11] op_sel:[0,1]
	s_andn2_b64 exec, exec, s[4:5]
	s_cbranch_execnz .LBB13_84
	s_branch .LBB13_2
.LBB13_85:
	s_or_b64 exec, exec, s[6:7]
                                        ; implicit-def: $vgpr0
                                        ; implicit-def: $vgpr1
                                        ; implicit-def: $vgpr2
.LBB13_86:
	s_andn2_saveexec_b64 s[6:7], s[10:11]
	s_cbranch_execz .LBB13_109
; %bb.87:
	s_load_dwordx2 s[8:9], s[8:9], 0x50
	s_waitcnt vmcnt(0)
	v_mbcnt_hi_u32_b32 v3, -1, v2
	v_readfirstlane_b32 s4, v3
	v_cmp_eq_u32_e64 s[4:5], s4, v3
	v_pk_mov_b32 v[8:9], 0, 0
	s_and_saveexec_b64 s[10:11], s[4:5]
	s_cbranch_execz .LBB13_93
; %bb.88:
	v_mov_b32_e32 v2, 0
	s_waitcnt lgkmcnt(0)
	global_load_dwordx2 v[6:7], v2, s[8:9] offset:24 glc
	s_waitcnt vmcnt(0)
	buffer_invl2
	buffer_wbinvl1_vol
	global_load_dwordx2 v[4:5], v2, s[8:9] offset:40
	global_load_dwordx2 v[8:9], v2, s[8:9]
	s_waitcnt vmcnt(1)
	v_and_b32_e32 v4, v4, v6
	v_and_b32_e32 v5, v5, v7
	v_mul_lo_u32 v5, v5, 24
	v_mul_hi_u32 v10, v4, 24
	v_mul_lo_u32 v4, v4, 24
	v_add_u32_e32 v5, v10, v5
	s_waitcnt vmcnt(0)
	v_add_co_u32_e32 v4, vcc, v8, v4
	v_addc_co_u32_e32 v5, vcc, v9, v5, vcc
	global_load_dwordx2 v[4:5], v[4:5], off glc
	s_waitcnt vmcnt(0)
	global_atomic_cmpswap_x2 v[8:9], v2, v[4:7], s[8:9] offset:24 glc
	s_waitcnt vmcnt(0)
	buffer_invl2
	buffer_wbinvl1_vol
	v_cmp_ne_u64_e32 vcc, v[8:9], v[6:7]
	s_and_saveexec_b64 s[12:13], vcc
	s_cbranch_execz .LBB13_92
; %bb.89:
	s_mov_b64 s[14:15], 0
.LBB13_90:                              ; =>This Inner Loop Header: Depth=1
	s_sleep 1
	global_load_dwordx2 v[4:5], v2, s[8:9] offset:40
	global_load_dwordx2 v[10:11], v2, s[8:9]
	v_pk_mov_b32 v[6:7], v[8:9], v[8:9] op_sel:[0,1]
	s_waitcnt vmcnt(1)
	v_and_b32_e32 v4, v4, v6
	v_and_b32_e32 v9, v5, v7
	s_waitcnt vmcnt(0)
	v_mad_u64_u32 v[4:5], s[16:17], v4, 24, v[10:11]
	v_mov_b32_e32 v8, v5
	v_mad_u64_u32 v[8:9], s[16:17], v9, 24, v[8:9]
	v_mov_b32_e32 v5, v8
	global_load_dwordx2 v[4:5], v[4:5], off glc
	s_waitcnt vmcnt(0)
	global_atomic_cmpswap_x2 v[8:9], v2, v[4:7], s[8:9] offset:24 glc
	s_waitcnt vmcnt(0)
	buffer_invl2
	buffer_wbinvl1_vol
	v_cmp_eq_u64_e32 vcc, v[8:9], v[6:7]
	s_or_b64 s[14:15], vcc, s[14:15]
	s_andn2_b64 exec, exec, s[14:15]
	s_cbranch_execnz .LBB13_90
; %bb.91:
	s_or_b64 exec, exec, s[14:15]
.LBB13_92:
	s_or_b64 exec, exec, s[12:13]
.LBB13_93:
	s_or_b64 exec, exec, s[10:11]
	v_mov_b32_e32 v2, 0
	s_waitcnt lgkmcnt(0)
	global_load_dwordx2 v[10:11], v2, s[8:9] offset:40
	global_load_dwordx4 v[4:7], v2, s[8:9]
	v_readfirstlane_b32 s10, v8
	v_readfirstlane_b32 s11, v9
	s_mov_b64 s[12:13], exec
	s_waitcnt vmcnt(1)
	v_readfirstlane_b32 s14, v10
	v_readfirstlane_b32 s15, v11
	s_and_b64 s[14:15], s[10:11], s[14:15]
	s_mul_i32 s16, s15, 24
	s_mul_hi_u32 s17, s14, 24
	s_mul_i32 s18, s14, 24
	s_add_i32 s16, s17, s16
	v_mov_b32_e32 v9, s16
	s_waitcnt vmcnt(0)
	v_add_co_u32_e32 v8, vcc, s18, v4
	v_addc_co_u32_e32 v9, vcc, v5, v9, vcc
	s_and_saveexec_b64 s[16:17], s[4:5]
	s_cbranch_execz .LBB13_95
; %bb.94:
	v_pk_mov_b32 v[10:11], s[12:13], s[12:13] op_sel:[0,1]
	v_mov_b32_e32 v12, 2
	v_mov_b32_e32 v13, 1
	global_store_dwordx4 v[8:9], v[10:13], off offset:8
.LBB13_95:
	s_or_b64 exec, exec, s[16:17]
	s_lshl_b64 s[12:13], s[14:15], 12
	v_mov_b32_e32 v10, s13
	v_add_co_u32_e32 v6, vcc, s12, v6
	s_movk_i32 s12, 0xff1f
	v_addc_co_u32_e32 v7, vcc, v7, v10, vcc
	v_and_or_b32 v0, v0, s12, 32
	s_mov_b32 s12, 0
	v_lshlrev_b32_e32 v10, 6, v3
	v_mov_b32_e32 v3, v2
	v_readfirstlane_b32 s16, v6
	v_readfirstlane_b32 s17, v7
	s_mov_b32 s13, s12
	s_mov_b32 s14, s12
	;; [unrolled: 1-line block ×3, first 2 shown]
	s_nop 1
	global_store_dwordx4 v10, v[0:3], s[16:17]
	s_nop 0
	v_pk_mov_b32 v[0:1], s[12:13], s[12:13] op_sel:[0,1]
	v_pk_mov_b32 v[2:3], s[14:15], s[14:15] op_sel:[0,1]
	global_store_dwordx4 v10, v[0:3], s[16:17] offset:16
	global_store_dwordx4 v10, v[0:3], s[16:17] offset:32
	;; [unrolled: 1-line block ×3, first 2 shown]
	s_and_saveexec_b64 s[12:13], s[4:5]
	s_cbranch_execz .LBB13_103
; %bb.96:
	v_mov_b32_e32 v6, 0
	global_load_dwordx2 v[12:13], v6, s[8:9] offset:32 glc
	global_load_dwordx2 v[0:1], v6, s[8:9] offset:40
	v_mov_b32_e32 v10, s10
	v_mov_b32_e32 v11, s11
	s_waitcnt vmcnt(0)
	v_and_b32_e32 v0, s10, v0
	v_and_b32_e32 v1, s11, v1
	v_mul_lo_u32 v1, v1, 24
	v_mul_hi_u32 v2, v0, 24
	v_mul_lo_u32 v0, v0, 24
	v_add_u32_e32 v1, v2, v1
	v_add_co_u32_e32 v4, vcc, v4, v0
	v_addc_co_u32_e32 v5, vcc, v5, v1, vcc
	global_store_dwordx2 v[4:5], v[12:13], off
	buffer_wbl2
	s_waitcnt vmcnt(0)
	global_atomic_cmpswap_x2 v[2:3], v6, v[10:13], s[8:9] offset:32 glc
	s_waitcnt vmcnt(0)
	v_cmp_ne_u64_e32 vcc, v[2:3], v[12:13]
	s_and_saveexec_b64 s[14:15], vcc
	s_cbranch_execz .LBB13_99
; %bb.97:
	s_mov_b64 s[16:17], 0
.LBB13_98:                              ; =>This Inner Loop Header: Depth=1
	s_sleep 1
	global_store_dwordx2 v[4:5], v[2:3], off
	v_mov_b32_e32 v0, s10
	v_mov_b32_e32 v1, s11
	buffer_wbl2
	s_waitcnt vmcnt(0)
	global_atomic_cmpswap_x2 v[0:1], v6, v[0:3], s[8:9] offset:32 glc
	s_waitcnt vmcnt(0)
	v_cmp_eq_u64_e32 vcc, v[0:1], v[2:3]
	s_or_b64 s[16:17], vcc, s[16:17]
	v_pk_mov_b32 v[2:3], v[0:1], v[0:1] op_sel:[0,1]
	s_andn2_b64 exec, exec, s[16:17]
	s_cbranch_execnz .LBB13_98
.LBB13_99:
	s_or_b64 exec, exec, s[14:15]
	v_mov_b32_e32 v3, 0
	global_load_dwordx2 v[0:1], v3, s[8:9] offset:16
	s_mov_b64 s[14:15], exec
	v_mbcnt_lo_u32_b32 v2, s14, 0
	v_mbcnt_hi_u32_b32 v2, s15, v2
	v_cmp_eq_u32_e32 vcc, 0, v2
	s_and_saveexec_b64 s[16:17], vcc
	s_cbranch_execz .LBB13_101
; %bb.100:
	s_bcnt1_i32_b64 s14, s[14:15]
	v_mov_b32_e32 v2, s14
	buffer_wbl2
	s_waitcnt vmcnt(0)
	global_atomic_add_x2 v[0:1], v[2:3], off offset:8
.LBB13_101:
	s_or_b64 exec, exec, s[16:17]
	s_waitcnt vmcnt(0)
	global_load_dwordx2 v[2:3], v[0:1], off offset:16
	s_waitcnt vmcnt(0)
	v_cmp_eq_u64_e32 vcc, 0, v[2:3]
	s_cbranch_vccnz .LBB13_103
; %bb.102:
	global_load_dword v0, v[0:1], off offset:24
	v_mov_b32_e32 v1, 0
	buffer_wbl2
	s_waitcnt vmcnt(0)
	global_store_dwordx2 v[2:3], v[0:1], off
	v_and_b32_e32 v0, 0xffffff, v0
	v_readfirstlane_b32 m0, v0
	s_sendmsg sendmsg(MSG_INTERRUPT)
.LBB13_103:
	s_or_b64 exec, exec, s[12:13]
	s_branch .LBB13_107
.LBB13_104:                             ;   in Loop: Header=BB13_107 Depth=1
	s_or_b64 exec, exec, s[12:13]
	v_readfirstlane_b32 s12, v0
	s_cmp_eq_u32 s12, 0
	s_cbranch_scc1 .LBB13_106
; %bb.105:                              ;   in Loop: Header=BB13_107 Depth=1
	s_sleep 1
	s_cbranch_execnz .LBB13_107
	s_branch .LBB13_110
.LBB13_106:
	s_branch .LBB13_110
.LBB13_107:                             ; =>This Inner Loop Header: Depth=1
	v_mov_b32_e32 v0, 1
	s_and_saveexec_b64 s[12:13], s[4:5]
	s_cbranch_execz .LBB13_104
; %bb.108:                              ;   in Loop: Header=BB13_107 Depth=1
	global_load_dword v0, v[8:9], off offset:20 glc
	s_waitcnt vmcnt(0)
	buffer_invl2
	buffer_wbinvl1_vol
	v_and_b32_e32 v0, 1, v0
	s_branch .LBB13_104
.LBB13_109:
	s_or_b64 exec, exec, s[6:7]
	s_waitcnt vmcnt(0) lgkmcnt(0)
	s_setpc_b64 s[30:31]
.LBB13_110:
	s_and_saveexec_b64 s[12:13], s[4:5]
	s_cbranch_execz .LBB13_113
; %bb.111:
	v_mov_b32_e32 v6, 0
	global_load_dwordx2 v[4:5], v6, s[8:9] offset:40
	global_load_dwordx2 v[8:9], v6, s[8:9] offset:24 glc
	global_load_dwordx2 v[10:11], v6, s[8:9]
	v_mov_b32_e32 v1, s11
	s_mov_b64 s[4:5], 0
	s_waitcnt vmcnt(2)
	v_add_co_u32_e32 v3, vcc, 1, v4
	v_addc_co_u32_e32 v7, vcc, 0, v5, vcc
	v_add_co_u32_e32 v0, vcc, s10, v3
	v_addc_co_u32_e32 v1, vcc, v7, v1, vcc
	v_cmp_eq_u64_e32 vcc, 0, v[0:1]
	v_cndmask_b32_e32 v1, v1, v7, vcc
	v_cndmask_b32_e32 v0, v0, v3, vcc
	v_and_b32_e32 v3, v1, v5
	v_and_b32_e32 v4, v0, v4
	v_mul_lo_u32 v3, v3, 24
	v_mul_hi_u32 v5, v4, 24
	v_mul_lo_u32 v4, v4, 24
	v_add_u32_e32 v3, v5, v3
	s_waitcnt vmcnt(0)
	v_add_co_u32_e32 v4, vcc, v10, v4
	v_addc_co_u32_e32 v5, vcc, v11, v3, vcc
	v_mov_b32_e32 v2, v8
	global_store_dwordx2 v[4:5], v[8:9], off
	v_mov_b32_e32 v3, v9
	buffer_wbl2
	s_waitcnt vmcnt(0)
	global_atomic_cmpswap_x2 v[2:3], v6, v[0:3], s[8:9] offset:24 glc
	s_waitcnt vmcnt(0)
	v_cmp_ne_u64_e32 vcc, v[2:3], v[8:9]
	s_and_b64 exec, exec, vcc
	s_cbranch_execz .LBB13_113
.LBB13_112:                             ; =>This Inner Loop Header: Depth=1
	s_sleep 1
	global_store_dwordx2 v[4:5], v[2:3], off
	buffer_wbl2
	s_waitcnt vmcnt(0)
	global_atomic_cmpswap_x2 v[8:9], v6, v[0:3], s[8:9] offset:24 glc
	s_waitcnt vmcnt(0)
	v_cmp_eq_u64_e32 vcc, v[8:9], v[2:3]
	s_or_b64 s[4:5], vcc, s[4:5]
	v_pk_mov_b32 v[2:3], v[8:9], v[8:9] op_sel:[0,1]
	s_andn2_b64 exec, exec, s[4:5]
	s_cbranch_execnz .LBB13_112
.LBB13_113:
	s_or_b64 exec, exec, s[12:13]
	s_or_b64 exec, exec, s[6:7]
	s_waitcnt vmcnt(0) lgkmcnt(0)
	s_setpc_b64 s[30:31]
.Lfunc_end13:
	.size	__ockl_fprintf_append_string_n, .Lfunc_end13-__ockl_fprintf_append_string_n
                                        ; -- End function
	.section	.AMDGPU.csdata,"",@progbits
; Function info:
; codeLenInByte = 4372
; NumSgprs: 36
; NumVgprs: 38
; NumAgprs: 0
; TotalNumVgprs: 38
; ScratchSize: 0
; MemoryBound: 0
	.text
	.p2align	2                               ; -- Begin function __assert_fail
	.type	__assert_fail,@function
__assert_fail:                          ; @__assert_fail
; %bb.0:
	s_waitcnt vmcnt(0) expcnt(0) lgkmcnt(0)
	s_mov_b32 s25, s33
	s_mov_b32 s33, s32
	s_or_saveexec_b64 s[4:5], -1
	buffer_store_dword v40, off, s[0:3], s33 offset:48 ; 4-byte Folded Spill
	s_mov_b64 exec, s[4:5]
	v_writelane_b32 v40, s30, 0
	s_addk_i32 s32, 0x1000
	v_writelane_b32 v40, s31, 1
	s_getpc_b64 s[4:5]
	s_add_u32 s4, s4, __const.__assert_fail.fmt@rel32@lo+4
	s_addc_u32 s5, s5, __const.__assert_fail.fmt@rel32@hi+12
	s_load_dwordx4 s[4:7], s[4:5], 0x0
	v_mov_b32_e32 v6, v0
	v_mov_b32_e32 v0, 0xa2e
	buffer_store_short v0, off, s[0:3], s33 offset:44
	v_mov_b32_e32 v0, 0x64656c69
	buffer_store_dword v0, off, s[0:3], s33 offset:40
	v_mov_b32_e32 v0, 0x61662027
	s_getpc_b64 s[10:11]
	s_add_u32 s10, s10, __const.__assert_fail.fmt@rel32@lo+20
	s_addc_u32 s11, s11, __const.__assert_fail.fmt@rel32@hi+28
	buffer_store_dword v0, off, s[0:3], s33 offset:36
	v_mov_b32_e32 v0, 0x73256020
	s_load_dwordx4 s[12:15], s[10:11], 0x0
	buffer_store_dword v0, off, s[0:3], s33 offset:32
	s_waitcnt lgkmcnt(0)
	v_mov_b32_e32 v0, s7
	buffer_store_dword v0, off, s[0:3], s33 offset:12
	v_mov_b32_e32 v0, s6
	buffer_store_dword v0, off, s[0:3], s33 offset:8
	;; [unrolled: 2-line block ×3, first 2 shown]
	v_mov_b32_e32 v0, s4
	buffer_store_dword v0, off, s[0:3], s33
	v_mov_b32_e32 v0, s15
	buffer_store_dword v0, off, s[0:3], s33 offset:28
	v_mov_b32_e32 v0, s14
	buffer_store_dword v0, off, s[0:3], s33 offset:24
	;; [unrolled: 2-line block ×3, first 2 shown]
	v_mov_b32_e32 v0, s12
	s_load_dwordx2 s[10:11], s[8:9], 0x50
	buffer_store_dword v0, off, s[0:3], s33 offset:16
	v_mbcnt_lo_u32_b32 v0, -1, 0
	v_mbcnt_hi_u32_b32 v49, -1, v0
	v_readfirstlane_b32 s4, v49
	v_mov_b32_e32 v37, v4
	v_mov_b32_e32 v36, v3
	;; [unrolled: 1-line block ×4, first 2 shown]
	v_cmp_eq_u32_e64 s[4:5], s4, v49
	v_pk_mov_b32 v[0:1], 0, 0
	buffer_store_byte v3, off, s[0:3], s33 offset:46
	s_and_saveexec_b64 s[6:7], s[4:5]
	s_cbranch_execz .LBB14_6
; %bb.1:
	s_waitcnt lgkmcnt(0)
	global_load_dwordx2 v[10:11], v3, s[10:11] offset:24 glc
	s_waitcnt vmcnt(0)
	buffer_invl2
	buffer_wbinvl1_vol
	global_load_dwordx2 v[0:1], v3, s[10:11] offset:40
	global_load_dwordx2 v[4:5], v3, s[10:11]
	s_waitcnt vmcnt(1)
	v_and_b32_e32 v0, v0, v10
	v_and_b32_e32 v1, v1, v11
	v_mul_lo_u32 v1, v1, 24
	v_mul_hi_u32 v8, v0, 24
	v_mul_lo_u32 v0, v0, 24
	v_add_u32_e32 v1, v8, v1
	s_waitcnt vmcnt(0)
	v_add_co_u32_e32 v0, vcc, v4, v0
	v_addc_co_u32_e32 v1, vcc, v5, v1, vcc
	global_load_dwordx2 v[8:9], v[0:1], off glc
	s_waitcnt vmcnt(0)
	global_atomic_cmpswap_x2 v[0:1], v3, v[8:11], s[10:11] offset:24 glc
	s_waitcnt vmcnt(0)
	buffer_invl2
	buffer_wbinvl1_vol
	v_cmp_ne_u64_e32 vcc, v[0:1], v[10:11]
	s_and_saveexec_b64 s[12:13], vcc
	s_cbranch_execz .LBB14_5
; %bb.2:
	s_mov_b64 s[14:15], 0
.LBB14_3:                               ; =>This Inner Loop Header: Depth=1
	s_sleep 1
	global_load_dwordx2 v[4:5], v3, s[10:11] offset:40
	global_load_dwordx2 v[8:9], v3, s[10:11]
	v_pk_mov_b32 v[10:11], v[0:1], v[0:1] op_sel:[0,1]
	s_waitcnt vmcnt(1)
	v_and_b32_e32 v0, v4, v10
	s_waitcnt vmcnt(0)
	v_mad_u64_u32 v[0:1], s[16:17], v0, 24, v[8:9]
	v_and_b32_e32 v5, v5, v11
	v_mov_b32_e32 v4, v1
	v_mad_u64_u32 v[4:5], s[16:17], v5, 24, v[4:5]
	v_mov_b32_e32 v1, v4
	global_load_dwordx2 v[8:9], v[0:1], off glc
	s_waitcnt vmcnt(0)
	global_atomic_cmpswap_x2 v[0:1], v3, v[8:11], s[10:11] offset:24 glc
	s_waitcnt vmcnt(0)
	buffer_invl2
	buffer_wbinvl1_vol
	v_cmp_eq_u64_e32 vcc, v[0:1], v[10:11]
	s_or_b64 s[14:15], vcc, s[14:15]
	s_andn2_b64 exec, exec, s[14:15]
	s_cbranch_execnz .LBB14_3
; %bb.4:
	s_or_b64 exec, exec, s[14:15]
.LBB14_5:
	s_or_b64 exec, exec, s[12:13]
.LBB14_6:
	s_or_b64 exec, exec, s[6:7]
	s_waitcnt lgkmcnt(0)
	global_load_dwordx2 v[4:5], v3, s[10:11] offset:40
	global_load_dwordx4 v[8:11], v3, s[10:11]
	v_readfirstlane_b32 s6, v0
	v_readfirstlane_b32 s7, v1
	s_mov_b64 s[12:13], exec
	s_waitcnt vmcnt(1)
	v_readfirstlane_b32 s14, v4
	v_readfirstlane_b32 s15, v5
	s_and_b64 s[14:15], s[6:7], s[14:15]
	s_mul_i32 s16, s15, 24
	s_mul_hi_u32 s17, s14, 24
	s_mul_i32 s18, s14, 24
	s_add_i32 s16, s17, s16
	v_mov_b32_e32 v1, s16
	s_waitcnt vmcnt(0)
	v_add_co_u32_e32 v0, vcc, s18, v8
	v_addc_co_u32_e32 v1, vcc, v9, v1, vcc
	s_and_saveexec_b64 s[16:17], s[4:5]
	s_cbranch_execz .LBB14_8
; %bb.7:
	v_pk_mov_b32 v[12:13], s[12:13], s[12:13] op_sel:[0,1]
	v_mov_b32_e32 v14, 2
	v_mov_b32_e32 v15, 1
	global_store_dwordx4 v[0:1], v[12:15], off offset:8
.LBB14_8:
	s_or_b64 exec, exec, s[16:17]
	s_lshl_b64 s[12:13], s[14:15], 12
	v_mov_b32_e32 v3, s13
	v_add_co_u32_e32 v14, vcc, s12, v10
	v_addc_co_u32_e32 v3, vcc, v11, v3, vcc
	s_mov_b32 s12, 0
	v_mov_b32_e32 v11, 0
	v_lshlrev_b32_e32 v48, 6, v49
	v_mov_b32_e32 v10, 33
	v_mov_b32_e32 v12, 1
	;; [unrolled: 1-line block ×3, first 2 shown]
	v_readfirstlane_b32 s16, v14
	v_readfirstlane_b32 s17, v3
	s_mov_b32 s13, s12
	v_add_co_u32_e32 v4, vcc, v14, v48
	s_mov_b32 s14, s12
	s_mov_b32 s15, s12
	s_nop 0
	global_store_dwordx4 v48, v[10:13], s[16:17]
	v_addc_co_u32_e32 v5, vcc, 0, v3, vcc
	v_pk_mov_b32 v[12:13], s[12:13], s[12:13] op_sel:[0,1]
	v_pk_mov_b32 v[14:15], s[14:15], s[14:15] op_sel:[0,1]
	global_store_dwordx4 v48, v[12:15], s[16:17] offset:16
	global_store_dwordx4 v48, v[12:15], s[16:17] offset:32
	;; [unrolled: 1-line block ×3, first 2 shown]
	s_and_saveexec_b64 s[12:13], s[4:5]
	s_cbranch_execz .LBB14_16
; %bb.9:
	global_load_dwordx2 v[16:17], v11, s[10:11] offset:32 glc
	global_load_dwordx2 v[12:13], v11, s[10:11] offset:40
	v_mov_b32_e32 v14, s6
	v_mov_b32_e32 v15, s7
	s_waitcnt vmcnt(0)
	v_and_b32_e32 v3, s6, v12
	v_and_b32_e32 v10, s7, v13
	v_mul_lo_u32 v10, v10, 24
	v_mul_hi_u32 v12, v3, 24
	v_mul_lo_u32 v3, v3, 24
	v_add_u32_e32 v10, v12, v10
	v_add_co_u32_e32 v8, vcc, v8, v3
	v_addc_co_u32_e32 v9, vcc, v9, v10, vcc
	global_store_dwordx2 v[8:9], v[16:17], off
	buffer_wbl2
	s_waitcnt vmcnt(0)
	global_atomic_cmpswap_x2 v[14:15], v11, v[14:17], s[10:11] offset:32 glc
	s_waitcnt vmcnt(0)
	v_cmp_ne_u64_e32 vcc, v[14:15], v[16:17]
	s_and_saveexec_b64 s[14:15], vcc
	s_cbranch_execz .LBB14_12
; %bb.10:
	s_mov_b64 s[16:17], 0
.LBB14_11:                              ; =>This Inner Loop Header: Depth=1
	s_sleep 1
	global_store_dwordx2 v[8:9], v[14:15], off
	v_mov_b32_e32 v12, s6
	v_mov_b32_e32 v13, s7
	buffer_wbl2
	s_waitcnt vmcnt(0)
	global_atomic_cmpswap_x2 v[12:13], v11, v[12:15], s[10:11] offset:32 glc
	s_waitcnt vmcnt(0)
	v_cmp_eq_u64_e32 vcc, v[12:13], v[14:15]
	s_or_b64 s[16:17], vcc, s[16:17]
	v_pk_mov_b32 v[14:15], v[12:13], v[12:13] op_sel:[0,1]
	s_andn2_b64 exec, exec, s[16:17]
	s_cbranch_execnz .LBB14_11
.LBB14_12:
	s_or_b64 exec, exec, s[14:15]
	v_mov_b32_e32 v11, 0
	global_load_dwordx2 v[8:9], v11, s[10:11] offset:16
	s_mov_b64 s[14:15], exec
	v_mbcnt_lo_u32_b32 v3, s14, 0
	v_mbcnt_hi_u32_b32 v3, s15, v3
	v_cmp_eq_u32_e32 vcc, 0, v3
	s_and_saveexec_b64 s[16:17], vcc
	s_cbranch_execz .LBB14_14
; %bb.13:
	s_bcnt1_i32_b64 s14, s[14:15]
	v_mov_b32_e32 v10, s14
	buffer_wbl2
	s_waitcnt vmcnt(0)
	global_atomic_add_x2 v[8:9], v[10:11], off offset:8
.LBB14_14:
	s_or_b64 exec, exec, s[16:17]
	s_waitcnt vmcnt(0)
	global_load_dwordx2 v[10:11], v[8:9], off offset:16
	s_waitcnt vmcnt(0)
	v_cmp_eq_u64_e32 vcc, 0, v[10:11]
	s_cbranch_vccnz .LBB14_16
; %bb.15:
	global_load_dword v8, v[8:9], off offset:24
	v_mov_b32_e32 v9, 0
	s_waitcnt vmcnt(0)
	v_and_b32_e32 v3, 0xffffff, v8
	v_readfirstlane_b32 m0, v3
	buffer_wbl2
	global_store_dwordx2 v[10:11], v[8:9], off
	s_sendmsg sendmsg(MSG_INTERRUPT)
.LBB14_16:
	s_or_b64 exec, exec, s[12:13]
	s_branch .LBB14_20
.LBB14_17:                              ;   in Loop: Header=BB14_20 Depth=1
	s_or_b64 exec, exec, s[12:13]
	v_readfirstlane_b32 s12, v3
	s_cmp_eq_u32 s12, 0
	s_cbranch_scc1 .LBB14_19
; %bb.18:                               ;   in Loop: Header=BB14_20 Depth=1
	s_sleep 1
	s_cbranch_execnz .LBB14_20
	s_branch .LBB14_22
.LBB14_19:
	s_branch .LBB14_22
.LBB14_20:                              ; =>This Inner Loop Header: Depth=1
	v_mov_b32_e32 v3, 1
	s_and_saveexec_b64 s[12:13], s[4:5]
	s_cbranch_execz .LBB14_17
; %bb.21:                               ;   in Loop: Header=BB14_20 Depth=1
	global_load_dword v3, v[0:1], off offset:20 glc
	s_waitcnt vmcnt(0)
	buffer_invl2
	buffer_wbinvl1_vol
	v_and_b32_e32 v3, 1, v3
	s_branch .LBB14_17
.LBB14_22:
	global_load_dwordx2 v[12:13], v[4:5], off
	s_and_saveexec_b64 s[12:13], s[4:5]
	s_cbranch_execz .LBB14_25
; %bb.23:
	v_mov_b32_e32 v3, 0
	global_load_dwordx2 v[0:1], v3, s[10:11] offset:40
	global_load_dwordx2 v[4:5], v3, s[10:11] offset:24 glc
	global_load_dwordx2 v[14:15], v3, s[10:11]
	v_mov_b32_e32 v9, s7
	s_mov_b64 s[4:5], 0
	s_waitcnt vmcnt(2)
	v_add_co_u32_e32 v11, vcc, 1, v0
	v_addc_co_u32_e32 v16, vcc, 0, v1, vcc
	v_add_co_u32_e32 v8, vcc, s6, v11
	v_addc_co_u32_e32 v9, vcc, v16, v9, vcc
	v_cmp_eq_u64_e32 vcc, 0, v[8:9]
	v_cndmask_b32_e32 v9, v9, v16, vcc
	v_cndmask_b32_e32 v8, v8, v11, vcc
	v_and_b32_e32 v1, v9, v1
	v_and_b32_e32 v0, v8, v0
	v_mul_lo_u32 v1, v1, 24
	v_mul_hi_u32 v11, v0, 24
	v_mul_lo_u32 v0, v0, 24
	v_add_u32_e32 v1, v11, v1
	s_waitcnt vmcnt(0)
	v_add_co_u32_e32 v0, vcc, v14, v0
	v_addc_co_u32_e32 v1, vcc, v15, v1, vcc
	v_mov_b32_e32 v10, v4
	global_store_dwordx2 v[0:1], v[4:5], off
	v_mov_b32_e32 v11, v5
	buffer_wbl2
	s_waitcnt vmcnt(0)
	global_atomic_cmpswap_x2 v[10:11], v3, v[8:11], s[10:11] offset:24 glc
	s_waitcnt vmcnt(0)
	v_cmp_ne_u64_e32 vcc, v[10:11], v[4:5]
	s_and_b64 exec, exec, vcc
	s_cbranch_execz .LBB14_25
.LBB14_24:                              ; =>This Inner Loop Header: Depth=1
	s_sleep 1
	global_store_dwordx2 v[0:1], v[10:11], off
	buffer_wbl2
	s_waitcnt vmcnt(0)
	global_atomic_cmpswap_x2 v[4:5], v3, v[8:11], s[10:11] offset:24 glc
	s_waitcnt vmcnt(0)
	v_cmp_eq_u64_e32 vcc, v[4:5], v[10:11]
	s_or_b64 s[4:5], vcc, s[4:5]
	v_pk_mov_b32 v[10:11], v[4:5], v[4:5] op_sel:[0,1]
	s_andn2_b64 exec, exec, s[4:5]
	s_cbranch_execnz .LBB14_24
.LBB14_25:
	s_or_b64 exec, exec, s[12:13]
	v_lshrrev_b32_e64 v1, 6, s33
	s_mov_b64 s[4:5], 0
.LBB14_26:                              ; =>This Inner Loop Header: Depth=1
	buffer_load_ubyte v3, v1, s[0:3], 0 offen
	v_add_u32_e32 v0, 1, v1
	v_mov_b32_e32 v1, v0
	s_waitcnt vmcnt(0)
	v_cmp_eq_u16_e32 vcc, 0, v3
	s_or_b64 s[4:5], vcc, s[4:5]
	s_andn2_b64 exec, exec, s[4:5]
	s_cbranch_execnz .LBB14_26
; %bb.27:
	s_or_b64 exec, exec, s[4:5]
	v_lshrrev_b32_e64 v5, 6, s33
	v_cmp_ne_u32_e32 vcc, -1, v5
	s_cbranch_vccz .LBB14_112
; %bb.28:
	v_lshrrev_b32_e64 v1, 6, s33
	v_subrev_u32_e32 v0, v1, v0
	v_ashrrev_i32_e32 v1, 31, v0
	v_and_b32_e32 v4, 2, v12
	v_mov_b32_e32 v35, 0
	v_and_b32_e32 v8, -3, v12
	v_mov_b32_e32 v9, v13
	s_mov_b64 s[12:13], 0
	s_mov_b32 s20, 0
	s_movk_i32 s21, 0xff1f
	v_mov_b32_e32 v16, 2
	v_mov_b32_e32 v17, 1
	s_branch .LBB14_30
.LBB14_29:                              ;   in Loop: Header=BB14_30 Depth=1
	s_or_b64 exec, exec, s[6:7]
	v_sub_co_u32_e32 v0, vcc, v0, v50
	v_subb_co_u32_e32 v1, vcc, v1, v15, vcc
	v_cmp_eq_u64_e32 vcc, 0, v[0:1]
	s_or_b64 s[12:13], vcc, s[12:13]
	v_add_u32_e32 v5, v5, v50
	s_andn2_b64 exec, exec, s[12:13]
	s_cbranch_execz .LBB14_113
.LBB14_30:                              ; =>This Loop Header: Depth=1
                                        ;     Child Loop BB14_33 Depth 2
                                        ;     Child Loop BB14_41 Depth 2
                                        ;     Child Loop BB14_49 Depth 2
                                        ;     Child Loop BB14_57 Depth 2
                                        ;     Child Loop BB14_65 Depth 2
                                        ;     Child Loop BB14_73 Depth 2
                                        ;     Child Loop BB14_81 Depth 2
                                        ;     Child Loop BB14_89 Depth 2
                                        ;     Child Loop BB14_97 Depth 2
                                        ;     Child Loop BB14_106 Depth 2
                                        ;     Child Loop BB14_111 Depth 2
	v_cmp_gt_u64_e32 vcc, 56, v[0:1]
	v_cndmask_b32_e32 v50, 56, v0, vcc
	v_cmp_gt_u64_e64 s[4:5], 8, v[0:1]
                                        ; implicit-def: $vgpr10_vgpr11
                                        ; implicit-def: $sgpr14
	s_and_saveexec_b64 s[6:7], s[4:5]
	s_xor_b64 s[6:7], exec, s[6:7]
	s_cbranch_execz .LBB14_36
; %bb.31:                               ;   in Loop: Header=BB14_30 Depth=1
	s_mov_b64 s[16:17], 0
	v_cmp_ne_u64_e64 s[4:5], 0, v[0:1]
	s_waitcnt vmcnt(0)
	v_pk_mov_b32 v[10:11], 0, 0
	s_and_saveexec_b64 s[14:15], s[4:5]
	s_cbranch_execz .LBB14_35
; %bb.32:                               ;   in Loop: Header=BB14_30 Depth=1
	s_mov_b32 s22, 0
	v_pk_mov_b32 v[10:11], 0, 0
	s_mov_b64 s[18:19], 0
.LBB14_33:                              ;   Parent Loop BB14_30 Depth=1
                                        ; =>  This Inner Loop Header: Depth=2
	v_add_u32_e32 v3, s22, v5
	buffer_load_ubyte v3, v3, s[0:3], 0 offen
	v_mov_b32_e32 v15, s20
	s_add_i32 s22, s22, 1
	v_cmp_eq_u32_e64 s[4:5], s22, v50
	s_waitcnt vmcnt(0)
	v_and_b32_e32 v14, 0xffff, v3
	v_lshlrev_b64 v[14:15], s18, v[14:15]
	s_add_u32 s18, s18, 8
	s_addc_u32 s19, s19, 0
	v_or_b32_e32 v11, v15, v11
	s_or_b64 s[16:17], s[4:5], s[16:17]
	v_or_b32_e32 v10, v14, v10
	s_andn2_b64 exec, exec, s[16:17]
	s_cbranch_execnz .LBB14_33
; %bb.34:                               ;   in Loop: Header=BB14_30 Depth=1
	s_or_b64 exec, exec, s[16:17]
.LBB14_35:                              ;   in Loop: Header=BB14_30 Depth=1
	s_or_b64 exec, exec, s[14:15]
	s_mov_b32 s14, 0
.LBB14_36:                              ;   in Loop: Header=BB14_30 Depth=1
	s_or_saveexec_b64 s[4:5], s[6:7]
	v_mov_b32_e32 v14, s14
	v_mov_b32_e32 v3, v5
	s_xor_b64 exec, exec, s[4:5]
	s_cbranch_execz .LBB14_38
; %bb.37:                               ;   in Loop: Header=BB14_30 Depth=1
	buffer_load_dword v3, v5, s[0:3], 0 offen offset:4
	buffer_load_dword v10, v5, s[0:3], 0 offen
	v_add_u32_e32 v14, -8, v50
	s_waitcnt vmcnt(1)
	v_and_b32_e32 v11, 0xff, v3
	v_and_b32_e32 v15, 0xff00, v3
	s_waitcnt vmcnt(0)
	v_or3_b32 v10, v10, 0, 0
	v_and_b32_e32 v18, 0xff0000, v3
	v_and_b32_e32 v3, 0xff000000, v3
	v_or3_b32 v11, 0, v11, v15
	v_or3_b32 v10, v10, 0, 0
	;; [unrolled: 1-line block ×3, first 2 shown]
	v_add_u32_e32 v3, 8, v5
.LBB14_38:                              ;   in Loop: Header=BB14_30 Depth=1
	s_or_b64 exec, exec, s[4:5]
	v_cmp_gt_u32_e64 s[4:5], 8, v14
                                        ; implicit-def: $vgpr18_vgpr19
                                        ; implicit-def: $sgpr14
	s_and_saveexec_b64 s[6:7], s[4:5]
	s_xor_b64 s[6:7], exec, s[6:7]
	s_cbranch_execz .LBB14_44
; %bb.39:                               ;   in Loop: Header=BB14_30 Depth=1
	v_cmp_ne_u32_e64 s[4:5], 0, v14
	v_pk_mov_b32 v[18:19], 0, 0
	s_and_saveexec_b64 s[14:15], s[4:5]
	s_cbranch_execz .LBB14_43
; %bb.40:                               ;   in Loop: Header=BB14_30 Depth=1
	s_mov_b32 s22, 0
	s_mov_b64 s[16:17], 0
	v_pk_mov_b32 v[18:19], 0, 0
	s_mov_b64 s[18:19], 0
.LBB14_41:                              ;   Parent Loop BB14_30 Depth=1
                                        ; =>  This Inner Loop Header: Depth=2
	v_add_u32_e32 v15, s22, v3
	buffer_load_ubyte v15, v15, s[0:3], 0 offen
	v_mov_b32_e32 v21, s20
	s_add_i32 s22, s22, 1
	v_cmp_eq_u32_e64 s[4:5], s22, v14
	s_waitcnt vmcnt(0)
	v_and_b32_e32 v20, 0xffff, v15
	v_lshlrev_b64 v[20:21], s18, v[20:21]
	s_add_u32 s18, s18, 8
	s_addc_u32 s19, s19, 0
	v_or_b32_e32 v19, v21, v19
	s_or_b64 s[16:17], s[4:5], s[16:17]
	v_or_b32_e32 v18, v20, v18
	s_andn2_b64 exec, exec, s[16:17]
	s_cbranch_execnz .LBB14_41
; %bb.42:                               ;   in Loop: Header=BB14_30 Depth=1
	s_or_b64 exec, exec, s[16:17]
.LBB14_43:                              ;   in Loop: Header=BB14_30 Depth=1
	s_or_b64 exec, exec, s[14:15]
	s_mov_b32 s14, 0
                                        ; implicit-def: $vgpr14
.LBB14_44:                              ;   in Loop: Header=BB14_30 Depth=1
	s_or_saveexec_b64 s[4:5], s[6:7]
	v_mov_b32_e32 v15, s14
	s_xor_b64 exec, exec, s[4:5]
	s_cbranch_execz .LBB14_46
; %bb.45:                               ;   in Loop: Header=BB14_30 Depth=1
	buffer_load_dword v18, v3, s[0:3], 0 offen offset:4
	buffer_load_dword v19, v3, s[0:3], 0 offen
	v_add_u32_e32 v15, -8, v14
	v_add_u32_e32 v3, 8, v3
	s_waitcnt vmcnt(1)
	v_and_b32_e32 v14, 0xff, v18
	v_and_b32_e32 v20, 0xff00, v18
	s_waitcnt vmcnt(0)
	v_or3_b32 v19, v19, 0, 0
	v_and_b32_e32 v21, 0xff0000, v18
	v_and_b32_e32 v22, 0xff000000, v18
	v_or3_b32 v14, 0, v14, v20
	v_or3_b32 v18, v19, 0, 0
	;; [unrolled: 1-line block ×3, first 2 shown]
.LBB14_46:                              ;   in Loop: Header=BB14_30 Depth=1
	s_or_b64 exec, exec, s[4:5]
	v_cmp_gt_u32_e64 s[4:5], 8, v15
                                        ; implicit-def: $sgpr14
	s_and_saveexec_b64 s[6:7], s[4:5]
	s_xor_b64 s[6:7], exec, s[6:7]
	s_cbranch_execz .LBB14_52
; %bb.47:                               ;   in Loop: Header=BB14_30 Depth=1
	v_cmp_ne_u32_e64 s[4:5], 0, v15
	v_pk_mov_b32 v[20:21], 0, 0
	s_and_saveexec_b64 s[14:15], s[4:5]
	s_cbranch_execz .LBB14_51
; %bb.48:                               ;   in Loop: Header=BB14_30 Depth=1
	s_mov_b32 s22, 0
	s_mov_b64 s[16:17], 0
	v_pk_mov_b32 v[20:21], 0, 0
	s_mov_b64 s[18:19], 0
.LBB14_49:                              ;   Parent Loop BB14_30 Depth=1
                                        ; =>  This Inner Loop Header: Depth=2
	v_add_u32_e32 v14, s22, v3
	buffer_load_ubyte v14, v14, s[0:3], 0 offen
	v_mov_b32_e32 v23, s20
	s_add_i32 s22, s22, 1
	v_cmp_eq_u32_e64 s[4:5], s22, v15
	s_waitcnt vmcnt(0)
	v_and_b32_e32 v22, 0xffff, v14
	v_lshlrev_b64 v[22:23], s18, v[22:23]
	s_add_u32 s18, s18, 8
	s_addc_u32 s19, s19, 0
	v_or_b32_e32 v21, v23, v21
	s_or_b64 s[16:17], s[4:5], s[16:17]
	v_or_b32_e32 v20, v22, v20
	s_andn2_b64 exec, exec, s[16:17]
	s_cbranch_execnz .LBB14_49
; %bb.50:                               ;   in Loop: Header=BB14_30 Depth=1
	s_or_b64 exec, exec, s[16:17]
.LBB14_51:                              ;   in Loop: Header=BB14_30 Depth=1
	s_or_b64 exec, exec, s[14:15]
	s_mov_b32 s14, 0
                                        ; implicit-def: $vgpr15
.LBB14_52:                              ;   in Loop: Header=BB14_30 Depth=1
	s_or_saveexec_b64 s[4:5], s[6:7]
	v_mov_b32_e32 v14, s14
	s_xor_b64 exec, exec, s[4:5]
	s_cbranch_execz .LBB14_54
; %bb.53:                               ;   in Loop: Header=BB14_30 Depth=1
	buffer_load_dword v20, v3, s[0:3], 0 offen offset:4
	buffer_load_dword v21, v3, s[0:3], 0 offen
	v_add_u32_e32 v14, -8, v15
	v_add_u32_e32 v3, 8, v3
	s_waitcnt vmcnt(1)
	v_and_b32_e32 v15, 0xff, v20
	v_and_b32_e32 v22, 0xff00, v20
	s_waitcnt vmcnt(0)
	v_or3_b32 v21, v21, 0, 0
	v_and_b32_e32 v23, 0xff0000, v20
	v_and_b32_e32 v24, 0xff000000, v20
	v_or3_b32 v15, 0, v15, v22
	v_or3_b32 v20, v21, 0, 0
	v_or3_b32 v21, v15, v23, v24
.LBB14_54:                              ;   in Loop: Header=BB14_30 Depth=1
	s_or_b64 exec, exec, s[4:5]
	v_cmp_gt_u32_e64 s[4:5], 8, v14
                                        ; implicit-def: $vgpr22_vgpr23
                                        ; implicit-def: $sgpr14
	s_and_saveexec_b64 s[6:7], s[4:5]
	s_xor_b64 s[6:7], exec, s[6:7]
	s_cbranch_execz .LBB14_60
; %bb.55:                               ;   in Loop: Header=BB14_30 Depth=1
	v_cmp_ne_u32_e64 s[4:5], 0, v14
	v_pk_mov_b32 v[22:23], 0, 0
	s_and_saveexec_b64 s[14:15], s[4:5]
	s_cbranch_execz .LBB14_59
; %bb.56:                               ;   in Loop: Header=BB14_30 Depth=1
	s_mov_b32 s22, 0
	s_mov_b64 s[16:17], 0
	v_pk_mov_b32 v[22:23], 0, 0
	s_mov_b64 s[18:19], 0
.LBB14_57:                              ;   Parent Loop BB14_30 Depth=1
                                        ; =>  This Inner Loop Header: Depth=2
	v_add_u32_e32 v15, s22, v3
	buffer_load_ubyte v15, v15, s[0:3], 0 offen
	v_mov_b32_e32 v25, s20
	s_add_i32 s22, s22, 1
	v_cmp_eq_u32_e64 s[4:5], s22, v14
	s_waitcnt vmcnt(0)
	v_and_b32_e32 v24, 0xffff, v15
	v_lshlrev_b64 v[24:25], s18, v[24:25]
	s_add_u32 s18, s18, 8
	s_addc_u32 s19, s19, 0
	v_or_b32_e32 v23, v25, v23
	s_or_b64 s[16:17], s[4:5], s[16:17]
	v_or_b32_e32 v22, v24, v22
	s_andn2_b64 exec, exec, s[16:17]
	s_cbranch_execnz .LBB14_57
; %bb.58:                               ;   in Loop: Header=BB14_30 Depth=1
	s_or_b64 exec, exec, s[16:17]
.LBB14_59:                              ;   in Loop: Header=BB14_30 Depth=1
	s_or_b64 exec, exec, s[14:15]
	s_mov_b32 s14, 0
                                        ; implicit-def: $vgpr14
.LBB14_60:                              ;   in Loop: Header=BB14_30 Depth=1
	s_or_saveexec_b64 s[4:5], s[6:7]
	v_mov_b32_e32 v15, s14
	s_xor_b64 exec, exec, s[4:5]
	s_cbranch_execz .LBB14_62
; %bb.61:                               ;   in Loop: Header=BB14_30 Depth=1
	buffer_load_dword v22, v3, s[0:3], 0 offen offset:4
	buffer_load_dword v23, v3, s[0:3], 0 offen
	v_add_u32_e32 v15, -8, v14
	v_add_u32_e32 v3, 8, v3
	s_waitcnt vmcnt(1)
	v_and_b32_e32 v14, 0xff, v22
	v_and_b32_e32 v24, 0xff00, v22
	s_waitcnt vmcnt(0)
	v_or3_b32 v23, v23, 0, 0
	v_and_b32_e32 v25, 0xff0000, v22
	v_and_b32_e32 v26, 0xff000000, v22
	v_or3_b32 v14, 0, v14, v24
	v_or3_b32 v22, v23, 0, 0
	;; [unrolled: 1-line block ×3, first 2 shown]
.LBB14_62:                              ;   in Loop: Header=BB14_30 Depth=1
	s_or_b64 exec, exec, s[4:5]
	v_cmp_gt_u32_e64 s[4:5], 8, v15
                                        ; implicit-def: $sgpr14
	s_and_saveexec_b64 s[6:7], s[4:5]
	s_xor_b64 s[6:7], exec, s[6:7]
	s_cbranch_execz .LBB14_68
; %bb.63:                               ;   in Loop: Header=BB14_30 Depth=1
	v_cmp_ne_u32_e64 s[4:5], 0, v15
	v_pk_mov_b32 v[24:25], 0, 0
	s_and_saveexec_b64 s[14:15], s[4:5]
	s_cbranch_execz .LBB14_67
; %bb.64:                               ;   in Loop: Header=BB14_30 Depth=1
	s_mov_b32 s22, 0
	s_mov_b64 s[16:17], 0
	v_pk_mov_b32 v[24:25], 0, 0
	s_mov_b64 s[18:19], 0
.LBB14_65:                              ;   Parent Loop BB14_30 Depth=1
                                        ; =>  This Inner Loop Header: Depth=2
	v_add_u32_e32 v14, s22, v3
	buffer_load_ubyte v14, v14, s[0:3], 0 offen
	v_mov_b32_e32 v27, s20
	s_add_i32 s22, s22, 1
	v_cmp_eq_u32_e64 s[4:5], s22, v15
	s_waitcnt vmcnt(0)
	v_and_b32_e32 v26, 0xffff, v14
	v_lshlrev_b64 v[26:27], s18, v[26:27]
	s_add_u32 s18, s18, 8
	s_addc_u32 s19, s19, 0
	v_or_b32_e32 v25, v27, v25
	s_or_b64 s[16:17], s[4:5], s[16:17]
	v_or_b32_e32 v24, v26, v24
	s_andn2_b64 exec, exec, s[16:17]
	s_cbranch_execnz .LBB14_65
; %bb.66:                               ;   in Loop: Header=BB14_30 Depth=1
	s_or_b64 exec, exec, s[16:17]
.LBB14_67:                              ;   in Loop: Header=BB14_30 Depth=1
	s_or_b64 exec, exec, s[14:15]
	s_mov_b32 s14, 0
                                        ; implicit-def: $vgpr15
.LBB14_68:                              ;   in Loop: Header=BB14_30 Depth=1
	s_or_saveexec_b64 s[4:5], s[6:7]
	v_mov_b32_e32 v14, s14
	s_xor_b64 exec, exec, s[4:5]
	s_cbranch_execz .LBB14_70
; %bb.69:                               ;   in Loop: Header=BB14_30 Depth=1
	buffer_load_dword v24, v3, s[0:3], 0 offen offset:4
	buffer_load_dword v25, v3, s[0:3], 0 offen
	v_add_u32_e32 v14, -8, v15
	v_add_u32_e32 v3, 8, v3
	s_waitcnt vmcnt(1)
	v_and_b32_e32 v15, 0xff, v24
	v_and_b32_e32 v26, 0xff00, v24
	s_waitcnt vmcnt(0)
	v_or3_b32 v25, v25, 0, 0
	v_and_b32_e32 v27, 0xff0000, v24
	v_and_b32_e32 v28, 0xff000000, v24
	v_or3_b32 v15, 0, v15, v26
	v_or3_b32 v24, v25, 0, 0
	;; [unrolled: 1-line block ×3, first 2 shown]
.LBB14_70:                              ;   in Loop: Header=BB14_30 Depth=1
	s_or_b64 exec, exec, s[4:5]
	v_cmp_gt_u32_e64 s[4:5], 8, v14
                                        ; implicit-def: $vgpr26_vgpr27
                                        ; implicit-def: $sgpr14
	s_and_saveexec_b64 s[6:7], s[4:5]
	s_xor_b64 s[6:7], exec, s[6:7]
	s_cbranch_execz .LBB14_76
; %bb.71:                               ;   in Loop: Header=BB14_30 Depth=1
	v_cmp_ne_u32_e64 s[4:5], 0, v14
	v_pk_mov_b32 v[26:27], 0, 0
	s_and_saveexec_b64 s[14:15], s[4:5]
	s_cbranch_execz .LBB14_75
; %bb.72:                               ;   in Loop: Header=BB14_30 Depth=1
	s_mov_b32 s22, 0
	s_mov_b64 s[16:17], 0
	v_pk_mov_b32 v[26:27], 0, 0
	s_mov_b64 s[18:19], 0
.LBB14_73:                              ;   Parent Loop BB14_30 Depth=1
                                        ; =>  This Inner Loop Header: Depth=2
	v_add_u32_e32 v15, s22, v3
	buffer_load_ubyte v15, v15, s[0:3], 0 offen
	v_mov_b32_e32 v29, s20
	s_add_i32 s22, s22, 1
	v_cmp_eq_u32_e64 s[4:5], s22, v14
	s_waitcnt vmcnt(0)
	v_and_b32_e32 v28, 0xffff, v15
	v_lshlrev_b64 v[28:29], s18, v[28:29]
	s_add_u32 s18, s18, 8
	s_addc_u32 s19, s19, 0
	v_or_b32_e32 v27, v29, v27
	s_or_b64 s[16:17], s[4:5], s[16:17]
	v_or_b32_e32 v26, v28, v26
	s_andn2_b64 exec, exec, s[16:17]
	s_cbranch_execnz .LBB14_73
; %bb.74:                               ;   in Loop: Header=BB14_30 Depth=1
	s_or_b64 exec, exec, s[16:17]
.LBB14_75:                              ;   in Loop: Header=BB14_30 Depth=1
	s_or_b64 exec, exec, s[14:15]
	s_mov_b32 s14, 0
                                        ; implicit-def: $vgpr14
.LBB14_76:                              ;   in Loop: Header=BB14_30 Depth=1
	s_or_saveexec_b64 s[4:5], s[6:7]
	v_mov_b32_e32 v15, s14
	s_xor_b64 exec, exec, s[4:5]
	s_cbranch_execz .LBB14_78
; %bb.77:                               ;   in Loop: Header=BB14_30 Depth=1
	buffer_load_dword v26, v3, s[0:3], 0 offen offset:4
	buffer_load_dword v27, v3, s[0:3], 0 offen
	v_add_u32_e32 v15, -8, v14
	v_add_u32_e32 v3, 8, v3
	s_waitcnt vmcnt(1)
	v_and_b32_e32 v14, 0xff, v26
	v_and_b32_e32 v28, 0xff00, v26
	s_waitcnt vmcnt(0)
	v_or3_b32 v27, v27, 0, 0
	v_and_b32_e32 v29, 0xff0000, v26
	v_and_b32_e32 v30, 0xff000000, v26
	v_or3_b32 v14, 0, v14, v28
	v_or3_b32 v26, v27, 0, 0
	;; [unrolled: 1-line block ×3, first 2 shown]
.LBB14_78:                              ;   in Loop: Header=BB14_30 Depth=1
	s_or_b64 exec, exec, s[4:5]
	v_cmp_gt_u32_e64 s[4:5], 8, v15
	s_and_saveexec_b64 s[6:7], s[4:5]
	s_xor_b64 s[6:7], exec, s[6:7]
	s_cbranch_execz .LBB14_84
; %bb.79:                               ;   in Loop: Header=BB14_30 Depth=1
	v_cmp_ne_u32_e64 s[4:5], 0, v15
	v_pk_mov_b32 v[28:29], 0, 0
	s_and_saveexec_b64 s[14:15], s[4:5]
	s_cbranch_execz .LBB14_83
; %bb.80:                               ;   in Loop: Header=BB14_30 Depth=1
	s_mov_b64 s[16:17], 0
	v_pk_mov_b32 v[28:29], 0, 0
	s_mov_b64 s[18:19], 0
.LBB14_81:                              ;   Parent Loop BB14_30 Depth=1
                                        ; =>  This Inner Loop Header: Depth=2
	buffer_load_ubyte v14, v3, s[0:3], 0 offen
	v_mov_b32_e32 v31, s20
	v_add_u32_e32 v15, -1, v15
	v_cmp_eq_u32_e64 s[4:5], 0, v15
	v_add_u32_e32 v3, 1, v3
	s_waitcnt vmcnt(0)
	v_and_b32_e32 v30, 0xffff, v14
	v_lshlrev_b64 v[30:31], s18, v[30:31]
	s_add_u32 s18, s18, 8
	s_addc_u32 s19, s19, 0
	v_or_b32_e32 v29, v31, v29
	s_or_b64 s[16:17], s[4:5], s[16:17]
	v_or_b32_e32 v28, v30, v28
	s_andn2_b64 exec, exec, s[16:17]
	s_cbranch_execnz .LBB14_81
; %bb.82:                               ;   in Loop: Header=BB14_30 Depth=1
	s_or_b64 exec, exec, s[16:17]
.LBB14_83:                              ;   in Loop: Header=BB14_30 Depth=1
	s_or_b64 exec, exec, s[14:15]
                                        ; implicit-def: $vgpr3
.LBB14_84:                              ;   in Loop: Header=BB14_30 Depth=1
	s_andn2_saveexec_b64 s[4:5], s[6:7]
	s_cbranch_execz .LBB14_86
; %bb.85:                               ;   in Loop: Header=BB14_30 Depth=1
	buffer_load_dword v14, v3, s[0:3], 0 offen offset:4
	buffer_load_dword v15, v3, s[0:3], 0 offen
	s_waitcnt vmcnt(1)
	v_and_b32_e32 v3, 0xff, v14
	v_and_b32_e32 v28, 0xff00, v14
	s_waitcnt vmcnt(0)
	v_or3_b32 v15, v15, 0, 0
	v_and_b32_e32 v29, 0xff0000, v14
	v_and_b32_e32 v14, 0xff000000, v14
	v_or3_b32 v3, 0, v3, v28
	v_or3_b32 v29, v3, v29, v14
	;; [unrolled: 1-line block ×3, first 2 shown]
.LBB14_86:                              ;   in Loop: Header=BB14_30 Depth=1
	s_or_b64 exec, exec, s[4:5]
	v_readfirstlane_b32 s4, v49
	v_cmp_eq_u32_e64 s[4:5], s4, v49
	v_pk_mov_b32 v[14:15], 0, 0
	s_and_saveexec_b64 s[14:15], s[4:5]
	s_cbranch_execz .LBB14_92
; %bb.87:                               ;   in Loop: Header=BB14_30 Depth=1
	global_load_dwordx2 v[32:33], v35, s[10:11] offset:24 glc
	s_waitcnt vmcnt(0)
	buffer_invl2
	buffer_wbinvl1_vol
	global_load_dwordx2 v[14:15], v35, s[10:11] offset:40
	global_load_dwordx2 v[30:31], v35, s[10:11]
	s_waitcnt vmcnt(1)
	v_and_b32_e32 v3, v14, v32
	v_and_b32_e32 v14, v15, v33
	v_mul_lo_u32 v14, v14, 24
	v_mul_hi_u32 v15, v3, 24
	v_mul_lo_u32 v3, v3, 24
	v_add_u32_e32 v15, v15, v14
	s_waitcnt vmcnt(0)
	v_add_co_u32_e64 v14, s[6:7], v30, v3
	v_addc_co_u32_e64 v15, s[6:7], v31, v15, s[6:7]
	global_load_dwordx2 v[30:31], v[14:15], off glc
	s_waitcnt vmcnt(0)
	global_atomic_cmpswap_x2 v[14:15], v35, v[30:33], s[10:11] offset:24 glc
	s_waitcnt vmcnt(0)
	buffer_invl2
	buffer_wbinvl1_vol
	v_cmp_ne_u64_e64 s[6:7], v[14:15], v[32:33]
	s_and_saveexec_b64 s[16:17], s[6:7]
	s_cbranch_execz .LBB14_91
; %bb.88:                               ;   in Loop: Header=BB14_30 Depth=1
	s_mov_b64 s[18:19], 0
.LBB14_89:                              ;   Parent Loop BB14_30 Depth=1
                                        ; =>  This Inner Loop Header: Depth=2
	s_sleep 1
	global_load_dwordx2 v[30:31], v35, s[10:11] offset:40
	global_load_dwordx2 v[38:39], v35, s[10:11]
	v_pk_mov_b32 v[32:33], v[14:15], v[14:15] op_sel:[0,1]
	s_waitcnt vmcnt(1)
	v_and_b32_e32 v14, v30, v32
	s_waitcnt vmcnt(0)
	v_mad_u64_u32 v[14:15], s[6:7], v14, 24, v[38:39]
	v_and_b32_e32 v3, v31, v33
	v_mov_b32_e32 v30, v15
	v_mad_u64_u32 v[30:31], s[6:7], v3, 24, v[30:31]
	v_mov_b32_e32 v15, v30
	global_load_dwordx2 v[30:31], v[14:15], off glc
	s_waitcnt vmcnt(0)
	global_atomic_cmpswap_x2 v[14:15], v35, v[30:33], s[10:11] offset:24 glc
	s_waitcnt vmcnt(0)
	buffer_invl2
	buffer_wbinvl1_vol
	v_cmp_eq_u64_e64 s[6:7], v[14:15], v[32:33]
	s_or_b64 s[18:19], s[6:7], s[18:19]
	s_andn2_b64 exec, exec, s[18:19]
	s_cbranch_execnz .LBB14_89
; %bb.90:                               ;   in Loop: Header=BB14_30 Depth=1
	s_or_b64 exec, exec, s[18:19]
.LBB14_91:                              ;   in Loop: Header=BB14_30 Depth=1
	s_or_b64 exec, exec, s[16:17]
.LBB14_92:                              ;   in Loop: Header=BB14_30 Depth=1
	s_or_b64 exec, exec, s[14:15]
	global_load_dwordx2 v[38:39], v35, s[10:11] offset:40
	global_load_dwordx4 v[30:33], v35, s[10:11]
	v_readfirstlane_b32 s14, v14
	v_readfirstlane_b32 s15, v15
	s_mov_b64 s[16:17], exec
	s_waitcnt vmcnt(1)
	v_readfirstlane_b32 s6, v38
	v_readfirstlane_b32 s7, v39
	s_and_b64 s[18:19], s[14:15], s[6:7]
	s_mul_i32 s6, s19, 24
	s_mul_hi_u32 s7, s18, 24
	s_mul_i32 s22, s18, 24
	s_add_i32 s6, s7, s6
	v_mov_b32_e32 v3, s6
	s_waitcnt vmcnt(0)
	v_add_co_u32_e64 v38, s[6:7], s22, v30
	v_addc_co_u32_e64 v39, s[6:7], v31, v3, s[6:7]
	s_and_saveexec_b64 s[6:7], s[4:5]
	s_cbranch_execz .LBB14_94
; %bb.93:                               ;   in Loop: Header=BB14_30 Depth=1
	v_pk_mov_b32 v[14:15], s[16:17], s[16:17] op_sel:[0,1]
	global_store_dwordx4 v[38:39], v[14:17], off offset:8
.LBB14_94:                              ;   in Loop: Header=BB14_30 Depth=1
	s_or_b64 exec, exec, s[6:7]
	s_lshl_b64 s[6:7], s[18:19], 12
	v_cndmask_b32_e32 v15, 0, v1, vcc
	v_mov_b32_e32 v3, s7
	v_add_co_u32_e32 v14, vcc, s6, v32
	v_addc_co_u32_e32 v3, vcc, v33, v3, vcc
	v_or_b32_e32 v32, 0, v9
	v_cmp_lt_u64_e32 vcc, 56, v[0:1]
	v_or_b32_e32 v33, v8, v4
	v_cndmask_b32_e32 v9, v32, v9, vcc
	v_lshl_add_u32 v32, v50, 2, 28
	v_cndmask_b32_e32 v8, v33, v8, vcc
	v_and_b32_e32 v32, 0x1e0, v32
	v_and_or_b32 v8, v8, s21, v32
	v_readfirstlane_b32 s6, v14
	v_readfirstlane_b32 s7, v3
	s_nop 4
	global_store_dwordx4 v48, v[8:11], s[6:7]
	global_store_dwordx4 v48, v[18:21], s[6:7] offset:16
	global_store_dwordx4 v48, v[22:25], s[6:7] offset:32
	global_store_dwordx4 v48, v[26:29], s[6:7] offset:48
	s_and_saveexec_b64 s[6:7], s[4:5]
	s_cbranch_execz .LBB14_102
; %bb.95:                               ;   in Loop: Header=BB14_30 Depth=1
	global_load_dwordx2 v[22:23], v35, s[10:11] offset:32 glc
	global_load_dwordx2 v[8:9], v35, s[10:11] offset:40
	v_mov_b32_e32 v20, s14
	v_mov_b32_e32 v21, s15
	s_waitcnt vmcnt(0)
	v_readfirstlane_b32 s16, v8
	v_readfirstlane_b32 s17, v9
	s_and_b64 s[16:17], s[16:17], s[14:15]
	s_mul_i32 s17, s17, 24
	s_mul_hi_u32 s18, s16, 24
	s_mul_i32 s16, s16, 24
	s_add_i32 s17, s18, s17
	v_mov_b32_e32 v8, s17
	v_add_co_u32_e32 v18, vcc, s16, v30
	v_addc_co_u32_e32 v19, vcc, v31, v8, vcc
	global_store_dwordx2 v[18:19], v[22:23], off
	buffer_wbl2
	s_waitcnt vmcnt(0)
	global_atomic_cmpswap_x2 v[10:11], v35, v[20:23], s[10:11] offset:32 glc
	s_waitcnt vmcnt(0)
	v_cmp_ne_u64_e32 vcc, v[10:11], v[22:23]
	s_and_saveexec_b64 s[16:17], vcc
	s_cbranch_execz .LBB14_98
; %bb.96:                               ;   in Loop: Header=BB14_30 Depth=1
	s_mov_b64 s[18:19], 0
.LBB14_97:                              ;   Parent Loop BB14_30 Depth=1
                                        ; =>  This Inner Loop Header: Depth=2
	s_sleep 1
	global_store_dwordx2 v[18:19], v[10:11], off
	v_mov_b32_e32 v8, s14
	v_mov_b32_e32 v9, s15
	buffer_wbl2
	s_waitcnt vmcnt(0)
	global_atomic_cmpswap_x2 v[8:9], v35, v[8:11], s[10:11] offset:32 glc
	s_waitcnt vmcnt(0)
	v_cmp_eq_u64_e32 vcc, v[8:9], v[10:11]
	s_or_b64 s[18:19], vcc, s[18:19]
	v_pk_mov_b32 v[10:11], v[8:9], v[8:9] op_sel:[0,1]
	s_andn2_b64 exec, exec, s[18:19]
	s_cbranch_execnz .LBB14_97
.LBB14_98:                              ;   in Loop: Header=BB14_30 Depth=1
	s_or_b64 exec, exec, s[16:17]
	global_load_dwordx2 v[8:9], v35, s[10:11] offset:16
	s_mov_b64 s[18:19], exec
	v_mbcnt_lo_u32_b32 v10, s18, 0
	v_mbcnt_hi_u32_b32 v10, s19, v10
	v_cmp_eq_u32_e32 vcc, 0, v10
	s_and_saveexec_b64 s[16:17], vcc
	s_cbranch_execz .LBB14_100
; %bb.99:                               ;   in Loop: Header=BB14_30 Depth=1
	s_bcnt1_i32_b64 s18, s[18:19]
	v_mov_b32_e32 v34, s18
	buffer_wbl2
	s_waitcnt vmcnt(0)
	global_atomic_add_x2 v[8:9], v[34:35], off offset:8
.LBB14_100:                             ;   in Loop: Header=BB14_30 Depth=1
	s_or_b64 exec, exec, s[16:17]
	s_waitcnt vmcnt(0)
	global_load_dwordx2 v[10:11], v[8:9], off offset:16
	s_waitcnt vmcnt(0)
	v_cmp_eq_u64_e32 vcc, 0, v[10:11]
	s_cbranch_vccnz .LBB14_102
; %bb.101:                              ;   in Loop: Header=BB14_30 Depth=1
	global_load_dword v34, v[8:9], off offset:24
	s_waitcnt vmcnt(0)
	v_and_b32_e32 v8, 0xffffff, v34
	v_readfirstlane_b32 m0, v8
	buffer_wbl2
	global_store_dwordx2 v[10:11], v[34:35], off
	s_sendmsg sendmsg(MSG_INTERRUPT)
.LBB14_102:                             ;   in Loop: Header=BB14_30 Depth=1
	s_or_b64 exec, exec, s[6:7]
	v_add_co_u32_e32 v8, vcc, v14, v48
	v_addc_co_u32_e32 v9, vcc, 0, v3, vcc
	s_branch .LBB14_106
.LBB14_103:                             ;   in Loop: Header=BB14_106 Depth=2
	s_or_b64 exec, exec, s[6:7]
	v_readfirstlane_b32 s6, v3
	s_cmp_eq_u32 s6, 0
	s_cbranch_scc1 .LBB14_105
; %bb.104:                              ;   in Loop: Header=BB14_106 Depth=2
	s_sleep 1
	s_cbranch_execnz .LBB14_106
	s_branch .LBB14_108
.LBB14_105:                             ;   in Loop: Header=BB14_30 Depth=1
	s_branch .LBB14_108
.LBB14_106:                             ;   Parent Loop BB14_30 Depth=1
                                        ; =>  This Inner Loop Header: Depth=2
	v_mov_b32_e32 v3, 1
	s_and_saveexec_b64 s[6:7], s[4:5]
	s_cbranch_execz .LBB14_103
; %bb.107:                              ;   in Loop: Header=BB14_106 Depth=2
	global_load_dword v3, v[38:39], off offset:20 glc
	s_waitcnt vmcnt(0)
	buffer_invl2
	buffer_wbinvl1_vol
	v_and_b32_e32 v3, 1, v3
	s_branch .LBB14_103
.LBB14_108:                             ;   in Loop: Header=BB14_30 Depth=1
	global_load_dwordx4 v[8:11], v[8:9], off
	s_and_saveexec_b64 s[6:7], s[4:5]
	s_cbranch_execz .LBB14_29
; %bb.109:                              ;   in Loop: Header=BB14_30 Depth=1
	global_load_dwordx2 v[10:11], v35, s[10:11] offset:40
	global_load_dwordx2 v[22:23], v35, s[10:11] offset:24 glc
	global_load_dwordx2 v[24:25], v35, s[10:11]
	v_mov_b32_e32 v3, s15
	s_waitcnt vmcnt(2)
	v_add_co_u32_e32 v14, vcc, 1, v10
	v_addc_co_u32_e32 v21, vcc, 0, v11, vcc
	v_add_co_u32_e32 v18, vcc, s14, v14
	v_addc_co_u32_e32 v19, vcc, v21, v3, vcc
	v_cmp_eq_u64_e32 vcc, 0, v[18:19]
	v_cndmask_b32_e32 v19, v19, v21, vcc
	v_cndmask_b32_e32 v18, v18, v14, vcc
	v_and_b32_e32 v3, v19, v11
	v_and_b32_e32 v10, v18, v10
	v_mul_lo_u32 v3, v3, 24
	v_mul_hi_u32 v11, v10, 24
	v_mul_lo_u32 v10, v10, 24
	v_add_u32_e32 v3, v11, v3
	s_waitcnt vmcnt(0)
	v_add_co_u32_e32 v10, vcc, v24, v10
	v_addc_co_u32_e32 v11, vcc, v25, v3, vcc
	v_mov_b32_e32 v20, v22
	global_store_dwordx2 v[10:11], v[22:23], off
	v_mov_b32_e32 v21, v23
	buffer_wbl2
	s_waitcnt vmcnt(0)
	global_atomic_cmpswap_x2 v[20:21], v35, v[18:21], s[10:11] offset:24 glc
	s_waitcnt vmcnt(0)
	v_cmp_ne_u64_e32 vcc, v[20:21], v[22:23]
	s_and_b64 exec, exec, vcc
	s_cbranch_execz .LBB14_29
; %bb.110:                              ;   in Loop: Header=BB14_30 Depth=1
	s_mov_b64 s[4:5], 0
.LBB14_111:                             ;   Parent Loop BB14_30 Depth=1
                                        ; =>  This Inner Loop Header: Depth=2
	s_sleep 1
	global_store_dwordx2 v[10:11], v[20:21], off
	buffer_wbl2
	s_waitcnt vmcnt(0)
	global_atomic_cmpswap_x2 v[22:23], v35, v[18:21], s[10:11] offset:24 glc
	s_waitcnt vmcnt(0)
	v_cmp_eq_u64_e32 vcc, v[22:23], v[20:21]
	s_or_b64 s[4:5], vcc, s[4:5]
	v_pk_mov_b32 v[20:21], v[22:23], v[22:23] op_sel:[0,1]
	s_andn2_b64 exec, exec, s[4:5]
	s_cbranch_execnz .LBB14_111
	s_branch .LBB14_29
.LBB14_112:
                                        ; implicit-def: $vgpr8_vgpr9
	s_cbranch_execnz .LBB14_114
	s_branch .LBB14_140
.LBB14_113:
	s_or_b64 exec, exec, s[12:13]
	s_branch .LBB14_140
.LBB14_114:
	v_readfirstlane_b32 s4, v49
	v_cmp_eq_u32_e64 s[4:5], s4, v49
	v_pk_mov_b32 v[0:1], 0, 0
	s_and_saveexec_b64 s[6:7], s[4:5]
	s_cbranch_execz .LBB14_120
; %bb.115:
	v_mov_b32_e32 v3, 0
	global_load_dwordx2 v[10:11], v3, s[10:11] offset:24 glc
	s_waitcnt vmcnt(0)
	buffer_invl2
	buffer_wbinvl1_vol
	global_load_dwordx2 v[0:1], v3, s[10:11] offset:40
	global_load_dwordx2 v[4:5], v3, s[10:11]
	s_waitcnt vmcnt(1)
	v_and_b32_e32 v0, v0, v10
	v_and_b32_e32 v1, v1, v11
	v_mul_lo_u32 v1, v1, 24
	v_mul_hi_u32 v8, v0, 24
	v_mul_lo_u32 v0, v0, 24
	v_add_u32_e32 v1, v8, v1
	s_waitcnt vmcnt(0)
	v_add_co_u32_e32 v0, vcc, v4, v0
	v_addc_co_u32_e32 v1, vcc, v5, v1, vcc
	global_load_dwordx2 v[8:9], v[0:1], off glc
	s_waitcnt vmcnt(0)
	global_atomic_cmpswap_x2 v[0:1], v3, v[8:11], s[10:11] offset:24 glc
	s_waitcnt vmcnt(0)
	buffer_invl2
	buffer_wbinvl1_vol
	v_cmp_ne_u64_e32 vcc, v[0:1], v[10:11]
	s_and_saveexec_b64 s[12:13], vcc
	s_cbranch_execz .LBB14_119
; %bb.116:
	s_mov_b64 s[14:15], 0
.LBB14_117:                             ; =>This Inner Loop Header: Depth=1
	s_sleep 1
	global_load_dwordx2 v[4:5], v3, s[10:11] offset:40
	global_load_dwordx2 v[8:9], v3, s[10:11]
	v_pk_mov_b32 v[10:11], v[0:1], v[0:1] op_sel:[0,1]
	s_waitcnt vmcnt(1)
	v_and_b32_e32 v0, v4, v10
	s_waitcnt vmcnt(0)
	v_mad_u64_u32 v[0:1], s[16:17], v0, 24, v[8:9]
	v_and_b32_e32 v5, v5, v11
	v_mov_b32_e32 v4, v1
	v_mad_u64_u32 v[4:5], s[16:17], v5, 24, v[4:5]
	v_mov_b32_e32 v1, v4
	global_load_dwordx2 v[8:9], v[0:1], off glc
	s_waitcnt vmcnt(0)
	global_atomic_cmpswap_x2 v[0:1], v3, v[8:11], s[10:11] offset:24 glc
	s_waitcnt vmcnt(0)
	buffer_invl2
	buffer_wbinvl1_vol
	v_cmp_eq_u64_e32 vcc, v[0:1], v[10:11]
	s_or_b64 s[14:15], vcc, s[14:15]
	s_andn2_b64 exec, exec, s[14:15]
	s_cbranch_execnz .LBB14_117
; %bb.118:
	s_or_b64 exec, exec, s[14:15]
.LBB14_119:
	s_or_b64 exec, exec, s[12:13]
.LBB14_120:
	s_or_b64 exec, exec, s[6:7]
	v_mov_b32_e32 v14, 0
	global_load_dwordx2 v[4:5], v14, s[10:11] offset:40
	global_load_dwordx4 v[8:11], v14, s[10:11]
	v_readfirstlane_b32 s6, v0
	v_readfirstlane_b32 s7, v1
	s_mov_b64 s[12:13], exec
	s_waitcnt vmcnt(1)
	v_readfirstlane_b32 s14, v4
	v_readfirstlane_b32 s15, v5
	s_and_b64 s[14:15], s[6:7], s[14:15]
	s_mul_i32 s16, s15, 24
	s_mul_hi_u32 s17, s14, 24
	s_mul_i32 s18, s14, 24
	s_add_i32 s16, s17, s16
	v_mov_b32_e32 v1, s16
	s_waitcnt vmcnt(0)
	v_add_co_u32_e32 v0, vcc, s18, v8
	v_addc_co_u32_e32 v1, vcc, v9, v1, vcc
	s_and_saveexec_b64 s[16:17], s[4:5]
	s_cbranch_execz .LBB14_122
; %bb.121:
	v_pk_mov_b32 v[16:17], s[12:13], s[12:13] op_sel:[0,1]
	v_mov_b32_e32 v18, 2
	v_mov_b32_e32 v19, 1
	global_store_dwordx4 v[0:1], v[16:19], off offset:8
.LBB14_122:
	s_or_b64 exec, exec, s[16:17]
	s_lshl_b64 s[12:13], s[14:15], 12
	v_mov_b32_e32 v3, s13
	v_add_co_u32_e32 v10, vcc, s12, v10
	s_movk_i32 s12, 0xff1f
	v_addc_co_u32_e32 v3, vcc, v11, v3, vcc
	v_and_or_b32 v12, v12, s12, 32
	s_mov_b32 s12, 0
	v_mov_b32_e32 v15, v14
	v_readfirstlane_b32 s16, v10
	v_readfirstlane_b32 s17, v3
	s_mov_b32 s13, s12
	v_add_co_u32_e32 v4, vcc, v10, v48
	s_mov_b32 s14, s12
	s_mov_b32 s15, s12
	s_nop 0
	global_store_dwordx4 v48, v[12:15], s[16:17]
	v_pk_mov_b32 v[10:11], s[12:13], s[12:13] op_sel:[0,1]
	v_addc_co_u32_e32 v5, vcc, 0, v3, vcc
	v_pk_mov_b32 v[12:13], s[14:15], s[14:15] op_sel:[0,1]
	global_store_dwordx4 v48, v[10:13], s[16:17] offset:16
	global_store_dwordx4 v48, v[10:13], s[16:17] offset:32
	;; [unrolled: 1-line block ×3, first 2 shown]
	s_and_saveexec_b64 s[12:13], s[4:5]
	s_cbranch_execz .LBB14_130
; %bb.123:
	v_mov_b32_e32 v3, 0
	global_load_dwordx2 v[16:17], v3, s[10:11] offset:32 glc
	global_load_dwordx2 v[10:11], v3, s[10:11] offset:40
	v_mov_b32_e32 v14, s6
	v_mov_b32_e32 v15, s7
	s_waitcnt vmcnt(0)
	v_readfirstlane_b32 s14, v10
	v_readfirstlane_b32 s15, v11
	s_and_b64 s[14:15], s[14:15], s[6:7]
	s_mul_i32 s15, s15, 24
	s_mul_hi_u32 s16, s14, 24
	s_mul_i32 s14, s14, 24
	s_add_i32 s15, s16, s15
	v_mov_b32_e32 v10, s15
	v_add_co_u32_e32 v12, vcc, s14, v8
	v_addc_co_u32_e32 v13, vcc, v9, v10, vcc
	global_store_dwordx2 v[12:13], v[16:17], off
	buffer_wbl2
	s_waitcnt vmcnt(0)
	global_atomic_cmpswap_x2 v[10:11], v3, v[14:17], s[10:11] offset:32 glc
	s_waitcnt vmcnt(0)
	v_cmp_ne_u64_e32 vcc, v[10:11], v[16:17]
	s_and_saveexec_b64 s[14:15], vcc
	s_cbranch_execz .LBB14_126
; %bb.124:
	s_mov_b64 s[16:17], 0
.LBB14_125:                             ; =>This Inner Loop Header: Depth=1
	s_sleep 1
	global_store_dwordx2 v[12:13], v[10:11], off
	v_mov_b32_e32 v8, s6
	v_mov_b32_e32 v9, s7
	buffer_wbl2
	s_waitcnt vmcnt(0)
	global_atomic_cmpswap_x2 v[8:9], v3, v[8:11], s[10:11] offset:32 glc
	s_waitcnt vmcnt(0)
	v_cmp_eq_u64_e32 vcc, v[8:9], v[10:11]
	s_or_b64 s[16:17], vcc, s[16:17]
	v_pk_mov_b32 v[10:11], v[8:9], v[8:9] op_sel:[0,1]
	s_andn2_b64 exec, exec, s[16:17]
	s_cbranch_execnz .LBB14_125
.LBB14_126:
	s_or_b64 exec, exec, s[14:15]
	v_mov_b32_e32 v11, 0
	global_load_dwordx2 v[8:9], v11, s[10:11] offset:16
	s_mov_b64 s[14:15], exec
	v_mbcnt_lo_u32_b32 v3, s14, 0
	v_mbcnt_hi_u32_b32 v3, s15, v3
	v_cmp_eq_u32_e32 vcc, 0, v3
	s_and_saveexec_b64 s[16:17], vcc
	s_cbranch_execz .LBB14_128
; %bb.127:
	s_bcnt1_i32_b64 s14, s[14:15]
	v_mov_b32_e32 v10, s14
	buffer_wbl2
	s_waitcnt vmcnt(0)
	global_atomic_add_x2 v[8:9], v[10:11], off offset:8
.LBB14_128:
	s_or_b64 exec, exec, s[16:17]
	s_waitcnt vmcnt(0)
	global_load_dwordx2 v[10:11], v[8:9], off offset:16
	s_waitcnt vmcnt(0)
	v_cmp_eq_u64_e32 vcc, 0, v[10:11]
	s_cbranch_vccnz .LBB14_130
; %bb.129:
	global_load_dword v8, v[8:9], off offset:24
	v_mov_b32_e32 v9, 0
	s_waitcnt vmcnt(0)
	v_and_b32_e32 v3, 0xffffff, v8
	v_readfirstlane_b32 m0, v3
	buffer_wbl2
	global_store_dwordx2 v[10:11], v[8:9], off
	s_sendmsg sendmsg(MSG_INTERRUPT)
.LBB14_130:
	s_or_b64 exec, exec, s[12:13]
	s_branch .LBB14_134
.LBB14_131:                             ;   in Loop: Header=BB14_134 Depth=1
	s_or_b64 exec, exec, s[12:13]
	v_readfirstlane_b32 s12, v3
	s_cmp_eq_u32 s12, 0
	s_cbranch_scc1 .LBB14_133
; %bb.132:                              ;   in Loop: Header=BB14_134 Depth=1
	s_sleep 1
	s_cbranch_execnz .LBB14_134
	s_branch .LBB14_136
.LBB14_133:
	s_branch .LBB14_136
.LBB14_134:                             ; =>This Inner Loop Header: Depth=1
	v_mov_b32_e32 v3, 1
	s_and_saveexec_b64 s[12:13], s[4:5]
	s_cbranch_execz .LBB14_131
; %bb.135:                              ;   in Loop: Header=BB14_134 Depth=1
	global_load_dword v3, v[0:1], off offset:20 glc
	s_waitcnt vmcnt(0)
	buffer_invl2
	buffer_wbinvl1_vol
	v_and_b32_e32 v3, 1, v3
	s_branch .LBB14_131
.LBB14_136:
	global_load_dwordx2 v[8:9], v[4:5], off
	s_and_saveexec_b64 s[12:13], s[4:5]
	s_cbranch_execz .LBB14_139
; %bb.137:
	v_mov_b32_e32 v3, 0
	global_load_dwordx2 v[0:1], v3, s[10:11] offset:40
	global_load_dwordx2 v[4:5], v3, s[10:11] offset:24 glc
	global_load_dwordx2 v[14:15], v3, s[10:11]
	v_mov_b32_e32 v11, s7
	s_mov_b64 s[4:5], 0
	s_waitcnt vmcnt(2)
	v_add_co_u32_e32 v13, vcc, 1, v0
	v_addc_co_u32_e32 v16, vcc, 0, v1, vcc
	v_add_co_u32_e32 v10, vcc, s6, v13
	v_addc_co_u32_e32 v11, vcc, v16, v11, vcc
	v_cmp_eq_u64_e32 vcc, 0, v[10:11]
	v_cndmask_b32_e32 v11, v11, v16, vcc
	v_cndmask_b32_e32 v10, v10, v13, vcc
	v_and_b32_e32 v1, v11, v1
	v_and_b32_e32 v0, v10, v0
	v_mul_lo_u32 v1, v1, 24
	v_mul_hi_u32 v13, v0, 24
	v_mul_lo_u32 v0, v0, 24
	v_add_u32_e32 v1, v13, v1
	s_waitcnt vmcnt(0)
	v_add_co_u32_e32 v0, vcc, v14, v0
	v_addc_co_u32_e32 v1, vcc, v15, v1, vcc
	v_mov_b32_e32 v12, v4
	global_store_dwordx2 v[0:1], v[4:5], off
	v_mov_b32_e32 v13, v5
	buffer_wbl2
	s_waitcnt vmcnt(0)
	global_atomic_cmpswap_x2 v[12:13], v3, v[10:13], s[10:11] offset:24 glc
	s_waitcnt vmcnt(0)
	v_cmp_ne_u64_e32 vcc, v[12:13], v[4:5]
	s_and_b64 exec, exec, vcc
	s_cbranch_execz .LBB14_139
.LBB14_138:                             ; =>This Inner Loop Header: Depth=1
	s_sleep 1
	global_store_dwordx2 v[0:1], v[12:13], off
	buffer_wbl2
	s_waitcnt vmcnt(0)
	global_atomic_cmpswap_x2 v[4:5], v3, v[10:13], s[10:11] offset:24 glc
	s_waitcnt vmcnt(0)
	v_cmp_eq_u64_e32 vcc, v[4:5], v[12:13]
	s_or_b64 s[4:5], vcc, s[4:5]
	v_pk_mov_b32 v[12:13], v[4:5], v[4:5] op_sel:[0,1]
	s_andn2_b64 exec, exec, s[4:5]
	s_cbranch_execnz .LBB14_138
.LBB14_139:
	s_or_b64 exec, exec, s[12:13]
.LBB14_140:
	s_getpc_b64 s[6:7]
	s_add_u32 s6, s6, .str.4@rel32@lo+4
	s_addc_u32 s7, s7, .str.4@rel32@hi+12
	s_cmp_lg_u64 s[6:7], 0
	s_cbranch_scc0 .LBB14_224
; %bb.141:
	s_getpc_b64 s[4:5]
	s_add_u32 s4, s4, .str.4@rel32@lo+95
	s_addc_u32 s5, s5, .str.4@rel32@hi+103
	s_sub_i32 s12, s4, s6
	s_ashr_i32 s13, s12, 31
	s_waitcnt vmcnt(0)
	v_and_b32_e32 v0, 2, v8
	v_mov_b32_e32 v5, 0
	v_and_b32_e32 v10, -3, v8
	v_mov_b32_e32 v11, v9
	v_mov_b32_e32 v14, 2
	;; [unrolled: 1-line block ×3, first 2 shown]
	s_branch .LBB14_143
.LBB14_142:                             ;   in Loop: Header=BB14_143 Depth=1
	s_or_b64 exec, exec, s[18:19]
	s_sub_u32 s12, s12, s14
	s_subb_u32 s13, s13, s15
	s_add_u32 s6, s6, s14
	s_addc_u32 s7, s7, s15
	s_cmp_lg_u64 s[12:13], 0
	s_cbranch_scc0 .LBB14_225
.LBB14_143:                             ; =>This Loop Header: Depth=1
                                        ;     Child Loop BB14_146 Depth 2
                                        ;     Child Loop BB14_153 Depth 2
	;; [unrolled: 1-line block ×11, first 2 shown]
	v_cmp_lt_u64_e64 s[4:5], s[12:13], 56
	s_and_b64 s[4:5], s[4:5], exec
	v_cmp_gt_u64_e64 s[4:5], s[12:13], 7
	s_cselect_b32 s15, s13, 0
	s_cselect_b32 s14, s12, 56
	s_and_b64 vcc, exec, s[4:5]
	s_cbranch_vccnz .LBB14_148
; %bb.144:                              ;   in Loop: Header=BB14_143 Depth=1
	s_mov_b64 s[4:5], 0
	s_cmp_eq_u64 s[12:13], 0
	v_pk_mov_b32 v[18:19], 0, 0
	s_cbranch_scc1 .LBB14_147
; %bb.145:                              ;   in Loop: Header=BB14_143 Depth=1
	s_lshl_b64 s[16:17], s[14:15], 3
	s_mov_b64 s[18:19], 0
	v_pk_mov_b32 v[18:19], 0, 0
	s_mov_b64 s[20:21], s[6:7]
.LBB14_146:                             ;   Parent Loop BB14_143 Depth=1
                                        ; =>  This Inner Loop Header: Depth=2
	global_load_ubyte v1, v5, s[20:21]
	s_waitcnt vmcnt(0)
	v_and_b32_e32 v4, 0xffff, v1
	v_lshlrev_b64 v[12:13], s18, v[4:5]
	s_add_u32 s18, s18, 8
	s_addc_u32 s19, s19, 0
	s_add_u32 s20, s20, 1
	s_addc_u32 s21, s21, 0
	v_or_b32_e32 v18, v12, v18
	s_cmp_lg_u32 s16, s18
	v_or_b32_e32 v19, v13, v19
	s_cbranch_scc1 .LBB14_146
.LBB14_147:                             ;   in Loop: Header=BB14_143 Depth=1
	s_mov_b32 s20, 0
	s_andn2_b64 vcc, exec, s[4:5]
	s_mov_b64 s[4:5], s[6:7]
	s_cbranch_vccz .LBB14_149
	s_branch .LBB14_150
.LBB14_148:                             ;   in Loop: Header=BB14_143 Depth=1
                                        ; implicit-def: $vgpr18_vgpr19
                                        ; implicit-def: $sgpr20
	s_mov_b64 s[4:5], s[6:7]
.LBB14_149:                             ;   in Loop: Header=BB14_143 Depth=1
	global_load_dwordx2 v[18:19], v5, s[6:7]
	s_add_i32 s20, s14, -8
	s_add_u32 s4, s6, 8
	s_addc_u32 s5, s7, 0
.LBB14_150:                             ;   in Loop: Header=BB14_143 Depth=1
	s_cmp_gt_u32 s20, 7
	s_cbranch_scc1 .LBB14_154
; %bb.151:                              ;   in Loop: Header=BB14_143 Depth=1
	s_cmp_eq_u32 s20, 0
	s_cbranch_scc1 .LBB14_155
; %bb.152:                              ;   in Loop: Header=BB14_143 Depth=1
	s_mov_b64 s[16:17], 0
	v_pk_mov_b32 v[20:21], 0, 0
	s_mov_b64 s[18:19], 0
.LBB14_153:                             ;   Parent Loop BB14_143 Depth=1
                                        ; =>  This Inner Loop Header: Depth=2
	s_add_u32 s22, s4, s18
	s_addc_u32 s23, s5, s19
	global_load_ubyte v1, v5, s[22:23]
	s_add_u32 s18, s18, 1
	s_addc_u32 s19, s19, 0
	s_waitcnt vmcnt(0)
	v_and_b32_e32 v4, 0xffff, v1
	v_lshlrev_b64 v[12:13], s16, v[4:5]
	s_add_u32 s16, s16, 8
	s_addc_u32 s17, s17, 0
	v_or_b32_e32 v20, v12, v20
	s_cmp_lg_u32 s20, s18
	v_or_b32_e32 v21, v13, v21
	s_cbranch_scc1 .LBB14_153
	s_branch .LBB14_156
.LBB14_154:                             ;   in Loop: Header=BB14_143 Depth=1
                                        ; implicit-def: $vgpr20_vgpr21
                                        ; implicit-def: $sgpr21
	s_branch .LBB14_157
.LBB14_155:                             ;   in Loop: Header=BB14_143 Depth=1
	v_pk_mov_b32 v[20:21], 0, 0
.LBB14_156:                             ;   in Loop: Header=BB14_143 Depth=1
	s_mov_b32 s21, 0
	s_cbranch_execnz .LBB14_158
.LBB14_157:                             ;   in Loop: Header=BB14_143 Depth=1
	global_load_dwordx2 v[20:21], v5, s[4:5]
	s_add_i32 s21, s20, -8
	s_add_u32 s4, s4, 8
	s_addc_u32 s5, s5, 0
.LBB14_158:                             ;   in Loop: Header=BB14_143 Depth=1
	s_cmp_gt_u32 s21, 7
	s_cbranch_scc1 .LBB14_162
; %bb.159:                              ;   in Loop: Header=BB14_143 Depth=1
	s_cmp_eq_u32 s21, 0
	s_cbranch_scc1 .LBB14_163
; %bb.160:                              ;   in Loop: Header=BB14_143 Depth=1
	s_mov_b64 s[16:17], 0
	v_pk_mov_b32 v[22:23], 0, 0
	s_mov_b64 s[18:19], 0
.LBB14_161:                             ;   Parent Loop BB14_143 Depth=1
                                        ; =>  This Inner Loop Header: Depth=2
	s_add_u32 s22, s4, s18
	s_addc_u32 s23, s5, s19
	global_load_ubyte v1, v5, s[22:23]
	s_add_u32 s18, s18, 1
	s_addc_u32 s19, s19, 0
	s_waitcnt vmcnt(0)
	v_and_b32_e32 v4, 0xffff, v1
	v_lshlrev_b64 v[12:13], s16, v[4:5]
	s_add_u32 s16, s16, 8
	s_addc_u32 s17, s17, 0
	v_or_b32_e32 v22, v12, v22
	s_cmp_lg_u32 s21, s18
	v_or_b32_e32 v23, v13, v23
	s_cbranch_scc1 .LBB14_161
	s_branch .LBB14_164
.LBB14_162:                             ;   in Loop: Header=BB14_143 Depth=1
                                        ; implicit-def: $sgpr20
	s_branch .LBB14_165
.LBB14_163:                             ;   in Loop: Header=BB14_143 Depth=1
	v_pk_mov_b32 v[22:23], 0, 0
.LBB14_164:                             ;   in Loop: Header=BB14_143 Depth=1
	s_mov_b32 s20, 0
	s_cbranch_execnz .LBB14_166
.LBB14_165:                             ;   in Loop: Header=BB14_143 Depth=1
	global_load_dwordx2 v[22:23], v5, s[4:5]
	s_add_i32 s20, s21, -8
	s_add_u32 s4, s4, 8
	s_addc_u32 s5, s5, 0
.LBB14_166:                             ;   in Loop: Header=BB14_143 Depth=1
	s_cmp_gt_u32 s20, 7
	s_cbranch_scc1 .LBB14_170
; %bb.167:                              ;   in Loop: Header=BB14_143 Depth=1
	s_cmp_eq_u32 s20, 0
	s_cbranch_scc1 .LBB14_171
; %bb.168:                              ;   in Loop: Header=BB14_143 Depth=1
	s_mov_b64 s[16:17], 0
	v_pk_mov_b32 v[24:25], 0, 0
	s_mov_b64 s[18:19], 0
.LBB14_169:                             ;   Parent Loop BB14_143 Depth=1
                                        ; =>  This Inner Loop Header: Depth=2
	s_add_u32 s22, s4, s18
	s_addc_u32 s23, s5, s19
	global_load_ubyte v1, v5, s[22:23]
	s_add_u32 s18, s18, 1
	s_addc_u32 s19, s19, 0
	s_waitcnt vmcnt(0)
	v_and_b32_e32 v4, 0xffff, v1
	v_lshlrev_b64 v[12:13], s16, v[4:5]
	s_add_u32 s16, s16, 8
	s_addc_u32 s17, s17, 0
	v_or_b32_e32 v24, v12, v24
	s_cmp_lg_u32 s20, s18
	v_or_b32_e32 v25, v13, v25
	s_cbranch_scc1 .LBB14_169
	s_branch .LBB14_172
.LBB14_170:                             ;   in Loop: Header=BB14_143 Depth=1
                                        ; implicit-def: $vgpr24_vgpr25
                                        ; implicit-def: $sgpr21
	s_branch .LBB14_173
.LBB14_171:                             ;   in Loop: Header=BB14_143 Depth=1
	v_pk_mov_b32 v[24:25], 0, 0
.LBB14_172:                             ;   in Loop: Header=BB14_143 Depth=1
	s_mov_b32 s21, 0
	s_cbranch_execnz .LBB14_174
.LBB14_173:                             ;   in Loop: Header=BB14_143 Depth=1
	global_load_dwordx2 v[24:25], v5, s[4:5]
	s_add_i32 s21, s20, -8
	s_add_u32 s4, s4, 8
	s_addc_u32 s5, s5, 0
.LBB14_174:                             ;   in Loop: Header=BB14_143 Depth=1
	s_cmp_gt_u32 s21, 7
	s_cbranch_scc1 .LBB14_178
; %bb.175:                              ;   in Loop: Header=BB14_143 Depth=1
	s_cmp_eq_u32 s21, 0
	s_cbranch_scc1 .LBB14_179
; %bb.176:                              ;   in Loop: Header=BB14_143 Depth=1
	s_mov_b64 s[16:17], 0
	v_pk_mov_b32 v[26:27], 0, 0
	s_mov_b64 s[18:19], 0
.LBB14_177:                             ;   Parent Loop BB14_143 Depth=1
                                        ; =>  This Inner Loop Header: Depth=2
	s_add_u32 s22, s4, s18
	s_addc_u32 s23, s5, s19
	global_load_ubyte v1, v5, s[22:23]
	s_add_u32 s18, s18, 1
	s_addc_u32 s19, s19, 0
	s_waitcnt vmcnt(0)
	v_and_b32_e32 v4, 0xffff, v1
	v_lshlrev_b64 v[12:13], s16, v[4:5]
	s_add_u32 s16, s16, 8
	s_addc_u32 s17, s17, 0
	v_or_b32_e32 v26, v12, v26
	s_cmp_lg_u32 s21, s18
	v_or_b32_e32 v27, v13, v27
	s_cbranch_scc1 .LBB14_177
	s_branch .LBB14_180
.LBB14_178:                             ;   in Loop: Header=BB14_143 Depth=1
                                        ; implicit-def: $sgpr20
	s_branch .LBB14_181
.LBB14_179:                             ;   in Loop: Header=BB14_143 Depth=1
	v_pk_mov_b32 v[26:27], 0, 0
.LBB14_180:                             ;   in Loop: Header=BB14_143 Depth=1
	s_mov_b32 s20, 0
	s_cbranch_execnz .LBB14_182
.LBB14_181:                             ;   in Loop: Header=BB14_143 Depth=1
	global_load_dwordx2 v[26:27], v5, s[4:5]
	s_add_i32 s20, s21, -8
	s_add_u32 s4, s4, 8
	s_addc_u32 s5, s5, 0
.LBB14_182:                             ;   in Loop: Header=BB14_143 Depth=1
	s_cmp_gt_u32 s20, 7
	s_cbranch_scc1 .LBB14_186
; %bb.183:                              ;   in Loop: Header=BB14_143 Depth=1
	s_cmp_eq_u32 s20, 0
	s_cbranch_scc1 .LBB14_187
; %bb.184:                              ;   in Loop: Header=BB14_143 Depth=1
	s_mov_b64 s[16:17], 0
	v_pk_mov_b32 v[28:29], 0, 0
	s_mov_b64 s[18:19], 0
.LBB14_185:                             ;   Parent Loop BB14_143 Depth=1
                                        ; =>  This Inner Loop Header: Depth=2
	s_add_u32 s22, s4, s18
	s_addc_u32 s23, s5, s19
	global_load_ubyte v1, v5, s[22:23]
	s_add_u32 s18, s18, 1
	s_addc_u32 s19, s19, 0
	s_waitcnt vmcnt(0)
	v_and_b32_e32 v4, 0xffff, v1
	v_lshlrev_b64 v[12:13], s16, v[4:5]
	s_add_u32 s16, s16, 8
	s_addc_u32 s17, s17, 0
	v_or_b32_e32 v28, v12, v28
	s_cmp_lg_u32 s20, s18
	v_or_b32_e32 v29, v13, v29
	s_cbranch_scc1 .LBB14_185
	s_branch .LBB14_188
.LBB14_186:                             ;   in Loop: Header=BB14_143 Depth=1
                                        ; implicit-def: $vgpr28_vgpr29
                                        ; implicit-def: $sgpr21
	s_branch .LBB14_189
.LBB14_187:                             ;   in Loop: Header=BB14_143 Depth=1
	v_pk_mov_b32 v[28:29], 0, 0
.LBB14_188:                             ;   in Loop: Header=BB14_143 Depth=1
	s_mov_b32 s21, 0
	s_cbranch_execnz .LBB14_190
.LBB14_189:                             ;   in Loop: Header=BB14_143 Depth=1
	global_load_dwordx2 v[28:29], v5, s[4:5]
	s_add_i32 s21, s20, -8
	s_add_u32 s4, s4, 8
	s_addc_u32 s5, s5, 0
.LBB14_190:                             ;   in Loop: Header=BB14_143 Depth=1
	s_cmp_gt_u32 s21, 7
	s_cbranch_scc1 .LBB14_194
; %bb.191:                              ;   in Loop: Header=BB14_143 Depth=1
	s_cmp_eq_u32 s21, 0
	s_cbranch_scc1 .LBB14_195
; %bb.192:                              ;   in Loop: Header=BB14_143 Depth=1
	s_mov_b64 s[16:17], 0
	v_pk_mov_b32 v[30:31], 0, 0
	s_mov_b64 s[18:19], s[4:5]
.LBB14_193:                             ;   Parent Loop BB14_143 Depth=1
                                        ; =>  This Inner Loop Header: Depth=2
	global_load_ubyte v1, v5, s[18:19]
	s_add_i32 s21, s21, -1
	s_waitcnt vmcnt(0)
	v_and_b32_e32 v4, 0xffff, v1
	v_lshlrev_b64 v[12:13], s16, v[4:5]
	s_add_u32 s16, s16, 8
	s_addc_u32 s17, s17, 0
	s_add_u32 s18, s18, 1
	s_addc_u32 s19, s19, 0
	v_or_b32_e32 v30, v12, v30
	s_cmp_lg_u32 s21, 0
	v_or_b32_e32 v31, v13, v31
	s_cbranch_scc1 .LBB14_193
	s_branch .LBB14_196
.LBB14_194:                             ;   in Loop: Header=BB14_143 Depth=1
	s_branch .LBB14_197
.LBB14_195:                             ;   in Loop: Header=BB14_143 Depth=1
	v_pk_mov_b32 v[30:31], 0, 0
.LBB14_196:                             ;   in Loop: Header=BB14_143 Depth=1
	s_cbranch_execnz .LBB14_198
.LBB14_197:                             ;   in Loop: Header=BB14_143 Depth=1
	global_load_dwordx2 v[30:31], v5, s[4:5]
.LBB14_198:                             ;   in Loop: Header=BB14_143 Depth=1
	v_readfirstlane_b32 s4, v49
	v_cmp_eq_u32_e64 s[4:5], s4, v49
	s_waitcnt vmcnt(0)
	v_pk_mov_b32 v[12:13], 0, 0
	s_and_saveexec_b64 s[16:17], s[4:5]
	s_cbranch_execz .LBB14_204
; %bb.199:                              ;   in Loop: Header=BB14_143 Depth=1
	global_load_dwordx2 v[34:35], v5, s[10:11] offset:24 glc
	s_waitcnt vmcnt(0)
	buffer_invl2
	buffer_wbinvl1_vol
	global_load_dwordx2 v[12:13], v5, s[10:11] offset:40
	global_load_dwordx2 v[16:17], v5, s[10:11]
	s_waitcnt vmcnt(1)
	v_and_b32_e32 v1, v12, v34
	v_and_b32_e32 v3, v13, v35
	v_mul_lo_u32 v3, v3, 24
	v_mul_hi_u32 v4, v1, 24
	v_mul_lo_u32 v1, v1, 24
	v_add_u32_e32 v3, v4, v3
	s_waitcnt vmcnt(0)
	v_add_co_u32_e32 v12, vcc, v16, v1
	v_addc_co_u32_e32 v13, vcc, v17, v3, vcc
	global_load_dwordx2 v[32:33], v[12:13], off glc
	s_waitcnt vmcnt(0)
	global_atomic_cmpswap_x2 v[12:13], v5, v[32:35], s[10:11] offset:24 glc
	s_waitcnt vmcnt(0)
	buffer_invl2
	buffer_wbinvl1_vol
	v_cmp_ne_u64_e32 vcc, v[12:13], v[34:35]
	s_and_saveexec_b64 s[18:19], vcc
	s_cbranch_execz .LBB14_203
; %bb.200:                              ;   in Loop: Header=BB14_143 Depth=1
	s_mov_b64 s[20:21], 0
.LBB14_201:                             ;   Parent Loop BB14_143 Depth=1
                                        ; =>  This Inner Loop Header: Depth=2
	s_sleep 1
	global_load_dwordx2 v[16:17], v5, s[10:11] offset:40
	global_load_dwordx2 v[32:33], v5, s[10:11]
	v_pk_mov_b32 v[34:35], v[12:13], v[12:13] op_sel:[0,1]
	s_waitcnt vmcnt(1)
	v_and_b32_e32 v3, v16, v34
	s_waitcnt vmcnt(0)
	v_mad_u64_u32 v[12:13], s[22:23], v3, 24, v[32:33]
	v_and_b32_e32 v1, v17, v35
	v_mov_b32_e32 v4, v13
	v_mad_u64_u32 v[16:17], s[22:23], v1, 24, v[4:5]
	v_mov_b32_e32 v13, v16
	global_load_dwordx2 v[32:33], v[12:13], off glc
	s_waitcnt vmcnt(0)
	global_atomic_cmpswap_x2 v[12:13], v5, v[32:35], s[10:11] offset:24 glc
	s_waitcnt vmcnt(0)
	buffer_invl2
	buffer_wbinvl1_vol
	v_cmp_eq_u64_e32 vcc, v[12:13], v[34:35]
	s_or_b64 s[20:21], vcc, s[20:21]
	s_andn2_b64 exec, exec, s[20:21]
	s_cbranch_execnz .LBB14_201
; %bb.202:                              ;   in Loop: Header=BB14_143 Depth=1
	s_or_b64 exec, exec, s[20:21]
.LBB14_203:                             ;   in Loop: Header=BB14_143 Depth=1
	s_or_b64 exec, exec, s[18:19]
.LBB14_204:                             ;   in Loop: Header=BB14_143 Depth=1
	s_or_b64 exec, exec, s[16:17]
	global_load_dwordx2 v[16:17], v5, s[10:11] offset:40
	global_load_dwordx4 v[32:35], v5, s[10:11]
	v_readfirstlane_b32 s16, v12
	v_readfirstlane_b32 s17, v13
	s_mov_b64 s[18:19], exec
	s_waitcnt vmcnt(1)
	v_readfirstlane_b32 s20, v16
	v_readfirstlane_b32 s21, v17
	s_and_b64 s[20:21], s[16:17], s[20:21]
	s_mul_i32 s22, s21, 24
	s_mul_hi_u32 s23, s20, 24
	s_mul_i32 s24, s20, 24
	s_add_i32 s22, s23, s22
	v_mov_b32_e32 v1, s22
	s_waitcnt vmcnt(0)
	v_add_co_u32_e32 v38, vcc, s24, v32
	v_addc_co_u32_e32 v39, vcc, v33, v1, vcc
	s_and_saveexec_b64 s[22:23], s[4:5]
	s_cbranch_execz .LBB14_206
; %bb.205:                              ;   in Loop: Header=BB14_143 Depth=1
	v_pk_mov_b32 v[12:13], s[18:19], s[18:19] op_sel:[0,1]
	global_store_dwordx4 v[38:39], v[12:15], off offset:8
.LBB14_206:                             ;   in Loop: Header=BB14_143 Depth=1
	s_or_b64 exec, exec, s[22:23]
	s_lshl_b64 s[18:19], s[20:21], 12
	v_mov_b32_e32 v1, s19
	v_add_co_u32_e32 v34, vcc, s18, v34
	v_addc_co_u32_e32 v1, vcc, v35, v1, vcc
	v_or_b32_e32 v3, 0, v11
	v_or_b32_e32 v4, v10, v0
	v_cmp_gt_u64_e64 vcc, s[12:13], 56
	s_lshl_b32 s18, s14, 2
	v_cndmask_b32_e32 v17, v3, v11, vcc
	v_cndmask_b32_e32 v3, v4, v10, vcc
	s_add_i32 s18, s18, 28
	s_and_b32 s18, s18, 0x1e0
	v_and_b32_e32 v3, 0xffffff1f, v3
	v_or_b32_e32 v16, s18, v3
	v_readfirstlane_b32 s18, v34
	v_readfirstlane_b32 s19, v1
	s_nop 4
	global_store_dwordx4 v48, v[16:19], s[18:19]
	global_store_dwordx4 v48, v[20:23], s[18:19] offset:16
	global_store_dwordx4 v48, v[24:27], s[18:19] offset:32
	;; [unrolled: 1-line block ×3, first 2 shown]
	s_and_saveexec_b64 s[18:19], s[4:5]
	s_cbranch_execz .LBB14_214
; %bb.207:                              ;   in Loop: Header=BB14_143 Depth=1
	global_load_dwordx2 v[20:21], v5, s[10:11] offset:32 glc
	global_load_dwordx2 v[10:11], v5, s[10:11] offset:40
	v_mov_b32_e32 v18, s16
	v_mov_b32_e32 v19, s17
	s_waitcnt vmcnt(0)
	v_readfirstlane_b32 s20, v10
	v_readfirstlane_b32 s21, v11
	s_and_b64 s[20:21], s[20:21], s[16:17]
	s_mul_i32 s21, s21, 24
	s_mul_hi_u32 s22, s20, 24
	s_mul_i32 s20, s20, 24
	s_add_i32 s21, s22, s21
	v_mov_b32_e32 v3, s21
	v_add_co_u32_e32 v16, vcc, s20, v32
	v_addc_co_u32_e32 v17, vcc, v33, v3, vcc
	global_store_dwordx2 v[16:17], v[20:21], off
	buffer_wbl2
	s_waitcnt vmcnt(0)
	global_atomic_cmpswap_x2 v[12:13], v5, v[18:21], s[10:11] offset:32 glc
	s_waitcnt vmcnt(0)
	v_cmp_ne_u64_e32 vcc, v[12:13], v[20:21]
	s_and_saveexec_b64 s[20:21], vcc
	s_cbranch_execz .LBB14_210
; %bb.208:                              ;   in Loop: Header=BB14_143 Depth=1
	s_mov_b64 s[22:23], 0
.LBB14_209:                             ;   Parent Loop BB14_143 Depth=1
                                        ; =>  This Inner Loop Header: Depth=2
	s_sleep 1
	global_store_dwordx2 v[16:17], v[12:13], off
	v_mov_b32_e32 v10, s16
	v_mov_b32_e32 v11, s17
	buffer_wbl2
	s_waitcnt vmcnt(0)
	global_atomic_cmpswap_x2 v[10:11], v5, v[10:13], s[10:11] offset:32 glc
	s_waitcnt vmcnt(0)
	v_cmp_eq_u64_e32 vcc, v[10:11], v[12:13]
	s_or_b64 s[22:23], vcc, s[22:23]
	v_pk_mov_b32 v[12:13], v[10:11], v[10:11] op_sel:[0,1]
	s_andn2_b64 exec, exec, s[22:23]
	s_cbranch_execnz .LBB14_209
.LBB14_210:                             ;   in Loop: Header=BB14_143 Depth=1
	s_or_b64 exec, exec, s[20:21]
	global_load_dwordx2 v[10:11], v5, s[10:11] offset:16
	s_mov_b64 s[22:23], exec
	v_mbcnt_lo_u32_b32 v3, s22, 0
	v_mbcnt_hi_u32_b32 v3, s23, v3
	v_cmp_eq_u32_e32 vcc, 0, v3
	s_and_saveexec_b64 s[20:21], vcc
	s_cbranch_execz .LBB14_212
; %bb.211:                              ;   in Loop: Header=BB14_143 Depth=1
	s_bcnt1_i32_b64 s22, s[22:23]
	v_mov_b32_e32 v4, s22
	buffer_wbl2
	s_waitcnt vmcnt(0)
	global_atomic_add_x2 v[10:11], v[4:5], off offset:8
.LBB14_212:                             ;   in Loop: Header=BB14_143 Depth=1
	s_or_b64 exec, exec, s[20:21]
	s_waitcnt vmcnt(0)
	global_load_dwordx2 v[12:13], v[10:11], off offset:16
	s_waitcnt vmcnt(0)
	v_cmp_eq_u64_e32 vcc, 0, v[12:13]
	s_cbranch_vccnz .LBB14_214
; %bb.213:                              ;   in Loop: Header=BB14_143 Depth=1
	global_load_dword v4, v[10:11], off offset:24
	s_waitcnt vmcnt(0)
	v_and_b32_e32 v3, 0xffffff, v4
	v_readfirstlane_b32 m0, v3
	buffer_wbl2
	global_store_dwordx2 v[12:13], v[4:5], off
	s_sendmsg sendmsg(MSG_INTERRUPT)
.LBB14_214:                             ;   in Loop: Header=BB14_143 Depth=1
	s_or_b64 exec, exec, s[18:19]
	v_add_co_u32_e32 v10, vcc, v34, v48
	v_addc_co_u32_e32 v11, vcc, 0, v1, vcc
	s_branch .LBB14_218
.LBB14_215:                             ;   in Loop: Header=BB14_218 Depth=2
	s_or_b64 exec, exec, s[18:19]
	v_readfirstlane_b32 s18, v1
	s_cmp_eq_u32 s18, 0
	s_cbranch_scc1 .LBB14_217
; %bb.216:                              ;   in Loop: Header=BB14_218 Depth=2
	s_sleep 1
	s_cbranch_execnz .LBB14_218
	s_branch .LBB14_220
.LBB14_217:                             ;   in Loop: Header=BB14_143 Depth=1
	s_branch .LBB14_220
.LBB14_218:                             ;   Parent Loop BB14_143 Depth=1
                                        ; =>  This Inner Loop Header: Depth=2
	v_mov_b32_e32 v1, 1
	s_and_saveexec_b64 s[18:19], s[4:5]
	s_cbranch_execz .LBB14_215
; %bb.219:                              ;   in Loop: Header=BB14_218 Depth=2
	global_load_dword v1, v[38:39], off offset:20 glc
	s_waitcnt vmcnt(0)
	buffer_invl2
	buffer_wbinvl1_vol
	v_and_b32_e32 v1, 1, v1
	s_branch .LBB14_215
.LBB14_220:                             ;   in Loop: Header=BB14_143 Depth=1
	global_load_dwordx4 v[10:13], v[10:11], off
	s_and_saveexec_b64 s[18:19], s[4:5]
	s_cbranch_execz .LBB14_142
; %bb.221:                              ;   in Loop: Header=BB14_143 Depth=1
	global_load_dwordx2 v[12:13], v5, s[10:11] offset:40
	global_load_dwordx2 v[20:21], v5, s[10:11] offset:24 glc
	global_load_dwordx2 v[22:23], v5, s[10:11]
	v_mov_b32_e32 v1, s17
	s_waitcnt vmcnt(2)
	v_add_co_u32_e32 v3, vcc, 1, v12
	v_addc_co_u32_e32 v4, vcc, 0, v13, vcc
	v_add_co_u32_e32 v16, vcc, s16, v3
	v_addc_co_u32_e32 v17, vcc, v4, v1, vcc
	v_cmp_eq_u64_e32 vcc, 0, v[16:17]
	v_cndmask_b32_e32 v17, v17, v4, vcc
	v_cndmask_b32_e32 v16, v16, v3, vcc
	v_and_b32_e32 v1, v17, v13
	v_and_b32_e32 v3, v16, v12
	v_mul_lo_u32 v1, v1, 24
	v_mul_hi_u32 v4, v3, 24
	v_mul_lo_u32 v3, v3, 24
	v_add_u32_e32 v1, v4, v1
	s_waitcnt vmcnt(0)
	v_add_co_u32_e32 v12, vcc, v22, v3
	v_addc_co_u32_e32 v13, vcc, v23, v1, vcc
	v_mov_b32_e32 v18, v20
	global_store_dwordx2 v[12:13], v[20:21], off
	v_mov_b32_e32 v19, v21
	buffer_wbl2
	s_waitcnt vmcnt(0)
	global_atomic_cmpswap_x2 v[18:19], v5, v[16:19], s[10:11] offset:24 glc
	s_waitcnt vmcnt(0)
	v_cmp_ne_u64_e32 vcc, v[18:19], v[20:21]
	s_and_b64 exec, exec, vcc
	s_cbranch_execz .LBB14_142
; %bb.222:                              ;   in Loop: Header=BB14_143 Depth=1
	s_mov_b64 s[4:5], 0
.LBB14_223:                             ;   Parent Loop BB14_143 Depth=1
                                        ; =>  This Inner Loop Header: Depth=2
	s_sleep 1
	global_store_dwordx2 v[12:13], v[18:19], off
	buffer_wbl2
	s_waitcnt vmcnt(0)
	global_atomic_cmpswap_x2 v[20:21], v5, v[16:19], s[10:11] offset:24 glc
	s_waitcnt vmcnt(0)
	v_cmp_eq_u64_e32 vcc, v[20:21], v[18:19]
	s_or_b64 s[4:5], vcc, s[4:5]
	v_pk_mov_b32 v[18:19], v[20:21], v[20:21] op_sel:[0,1]
	s_andn2_b64 exec, exec, s[4:5]
	s_cbranch_execnz .LBB14_223
	s_branch .LBB14_142
.LBB14_224:
                                        ; implicit-def: $vgpr10_vgpr11
	s_cbranch_execnz .LBB14_226
	s_branch .LBB14_252
.LBB14_225:
	s_branch .LBB14_252
.LBB14_226:
	v_readfirstlane_b32 s4, v49
	v_cmp_eq_u32_e64 s[4:5], s4, v49
	v_pk_mov_b32 v[0:1], 0, 0
	s_and_saveexec_b64 s[6:7], s[4:5]
	s_cbranch_execz .LBB14_232
; %bb.227:
	v_mov_b32_e32 v3, 0
	global_load_dwordx2 v[12:13], v3, s[10:11] offset:24 glc
	s_waitcnt vmcnt(0)
	buffer_invl2
	buffer_wbinvl1_vol
	global_load_dwordx2 v[0:1], v3, s[10:11] offset:40
	global_load_dwordx2 v[4:5], v3, s[10:11]
	s_waitcnt vmcnt(1)
	v_and_b32_e32 v0, v0, v12
	v_and_b32_e32 v1, v1, v13
	v_mul_lo_u32 v1, v1, 24
	v_mul_hi_u32 v10, v0, 24
	v_mul_lo_u32 v0, v0, 24
	v_add_u32_e32 v1, v10, v1
	s_waitcnt vmcnt(0)
	v_add_co_u32_e32 v0, vcc, v4, v0
	v_addc_co_u32_e32 v1, vcc, v5, v1, vcc
	global_load_dwordx2 v[10:11], v[0:1], off glc
	s_waitcnt vmcnt(0)
	global_atomic_cmpswap_x2 v[0:1], v3, v[10:13], s[10:11] offset:24 glc
	s_waitcnt vmcnt(0)
	buffer_invl2
	buffer_wbinvl1_vol
	v_cmp_ne_u64_e32 vcc, v[0:1], v[12:13]
	s_and_saveexec_b64 s[12:13], vcc
	s_cbranch_execz .LBB14_231
; %bb.228:
	s_mov_b64 s[14:15], 0
.LBB14_229:                             ; =>This Inner Loop Header: Depth=1
	s_sleep 1
	global_load_dwordx2 v[4:5], v3, s[10:11] offset:40
	global_load_dwordx2 v[10:11], v3, s[10:11]
	v_pk_mov_b32 v[12:13], v[0:1], v[0:1] op_sel:[0,1]
	s_waitcnt vmcnt(1)
	v_and_b32_e32 v0, v4, v12
	s_waitcnt vmcnt(0)
	v_mad_u64_u32 v[0:1], s[16:17], v0, 24, v[10:11]
	v_and_b32_e32 v5, v5, v13
	v_mov_b32_e32 v4, v1
	v_mad_u64_u32 v[4:5], s[16:17], v5, 24, v[4:5]
	v_mov_b32_e32 v1, v4
	global_load_dwordx2 v[10:11], v[0:1], off glc
	s_waitcnt vmcnt(0)
	global_atomic_cmpswap_x2 v[0:1], v3, v[10:13], s[10:11] offset:24 glc
	s_waitcnt vmcnt(0)
	buffer_invl2
	buffer_wbinvl1_vol
	v_cmp_eq_u64_e32 vcc, v[0:1], v[12:13]
	s_or_b64 s[14:15], vcc, s[14:15]
	s_andn2_b64 exec, exec, s[14:15]
	s_cbranch_execnz .LBB14_229
; %bb.230:
	s_or_b64 exec, exec, s[14:15]
.LBB14_231:
	s_or_b64 exec, exec, s[12:13]
.LBB14_232:
	s_or_b64 exec, exec, s[6:7]
	s_waitcnt vmcnt(0)
	v_mov_b32_e32 v10, 0
	global_load_dwordx2 v[4:5], v10, s[10:11] offset:40
	global_load_dwordx4 v[12:15], v10, s[10:11]
	v_readfirstlane_b32 s6, v0
	v_readfirstlane_b32 s7, v1
	s_mov_b64 s[12:13], exec
	s_waitcnt vmcnt(1)
	v_readfirstlane_b32 s14, v4
	v_readfirstlane_b32 s15, v5
	s_and_b64 s[14:15], s[6:7], s[14:15]
	s_mul_i32 s16, s15, 24
	s_mul_hi_u32 s17, s14, 24
	s_mul_i32 s18, s14, 24
	s_add_i32 s16, s17, s16
	v_mov_b32_e32 v1, s16
	s_waitcnt vmcnt(0)
	v_add_co_u32_e32 v0, vcc, s18, v12
	v_addc_co_u32_e32 v1, vcc, v13, v1, vcc
	s_and_saveexec_b64 s[16:17], s[4:5]
	s_cbranch_execz .LBB14_234
; %bb.233:
	v_pk_mov_b32 v[16:17], s[12:13], s[12:13] op_sel:[0,1]
	v_mov_b32_e32 v18, 2
	v_mov_b32_e32 v19, 1
	global_store_dwordx4 v[0:1], v[16:19], off offset:8
.LBB14_234:
	s_or_b64 exec, exec, s[16:17]
	s_lshl_b64 s[12:13], s[14:15], 12
	v_mov_b32_e32 v3, s13
	v_add_co_u32_e32 v14, vcc, s12, v14
	s_movk_i32 s12, 0xff1f
	v_addc_co_u32_e32 v3, vcc, v15, v3, vcc
	v_and_or_b32 v8, v8, s12, 32
	s_mov_b32 s12, 0
	v_mov_b32_e32 v11, v10
	v_readfirstlane_b32 s16, v14
	v_readfirstlane_b32 s17, v3
	s_mov_b32 s13, s12
	v_add_co_u32_e32 v4, vcc, v14, v48
	s_mov_b32 s14, s12
	s_mov_b32 s15, s12
	s_nop 0
	global_store_dwordx4 v48, v[8:11], s[16:17]
	v_addc_co_u32_e32 v5, vcc, 0, v3, vcc
	v_pk_mov_b32 v[8:9], s[12:13], s[12:13] op_sel:[0,1]
	v_pk_mov_b32 v[10:11], s[14:15], s[14:15] op_sel:[0,1]
	global_store_dwordx4 v48, v[8:11], s[16:17] offset:16
	global_store_dwordx4 v48, v[8:11], s[16:17] offset:32
	;; [unrolled: 1-line block ×3, first 2 shown]
	s_and_saveexec_b64 s[12:13], s[4:5]
	s_cbranch_execz .LBB14_242
; %bb.235:
	v_mov_b32_e32 v3, 0
	global_load_dwordx2 v[16:17], v3, s[10:11] offset:32 glc
	global_load_dwordx2 v[8:9], v3, s[10:11] offset:40
	v_mov_b32_e32 v14, s6
	v_mov_b32_e32 v15, s7
	s_waitcnt vmcnt(0)
	v_readfirstlane_b32 s14, v8
	v_readfirstlane_b32 s15, v9
	s_and_b64 s[14:15], s[14:15], s[6:7]
	s_mul_i32 s15, s15, 24
	s_mul_hi_u32 s16, s14, 24
	s_mul_i32 s14, s14, 24
	s_add_i32 s15, s16, s15
	v_mov_b32_e32 v8, s15
	v_add_co_u32_e32 v12, vcc, s14, v12
	v_addc_co_u32_e32 v13, vcc, v13, v8, vcc
	global_store_dwordx2 v[12:13], v[16:17], off
	buffer_wbl2
	s_waitcnt vmcnt(0)
	global_atomic_cmpswap_x2 v[10:11], v3, v[14:17], s[10:11] offset:32 glc
	s_waitcnt vmcnt(0)
	v_cmp_ne_u64_e32 vcc, v[10:11], v[16:17]
	s_and_saveexec_b64 s[14:15], vcc
	s_cbranch_execz .LBB14_238
; %bb.236:
	s_mov_b64 s[16:17], 0
.LBB14_237:                             ; =>This Inner Loop Header: Depth=1
	s_sleep 1
	global_store_dwordx2 v[12:13], v[10:11], off
	v_mov_b32_e32 v8, s6
	v_mov_b32_e32 v9, s7
	buffer_wbl2
	s_waitcnt vmcnt(0)
	global_atomic_cmpswap_x2 v[8:9], v3, v[8:11], s[10:11] offset:32 glc
	s_waitcnt vmcnt(0)
	v_cmp_eq_u64_e32 vcc, v[8:9], v[10:11]
	s_or_b64 s[16:17], vcc, s[16:17]
	v_pk_mov_b32 v[10:11], v[8:9], v[8:9] op_sel:[0,1]
	s_andn2_b64 exec, exec, s[16:17]
	s_cbranch_execnz .LBB14_237
.LBB14_238:
	s_or_b64 exec, exec, s[14:15]
	v_mov_b32_e32 v11, 0
	global_load_dwordx2 v[8:9], v11, s[10:11] offset:16
	s_mov_b64 s[14:15], exec
	v_mbcnt_lo_u32_b32 v3, s14, 0
	v_mbcnt_hi_u32_b32 v3, s15, v3
	v_cmp_eq_u32_e32 vcc, 0, v3
	s_and_saveexec_b64 s[16:17], vcc
	s_cbranch_execz .LBB14_240
; %bb.239:
	s_bcnt1_i32_b64 s14, s[14:15]
	v_mov_b32_e32 v10, s14
	buffer_wbl2
	s_waitcnt vmcnt(0)
	global_atomic_add_x2 v[8:9], v[10:11], off offset:8
.LBB14_240:
	s_or_b64 exec, exec, s[16:17]
	s_waitcnt vmcnt(0)
	global_load_dwordx2 v[10:11], v[8:9], off offset:16
	s_waitcnt vmcnt(0)
	v_cmp_eq_u64_e32 vcc, 0, v[10:11]
	s_cbranch_vccnz .LBB14_242
; %bb.241:
	global_load_dword v8, v[8:9], off offset:24
	v_mov_b32_e32 v9, 0
	s_waitcnt vmcnt(0)
	v_and_b32_e32 v3, 0xffffff, v8
	v_readfirstlane_b32 m0, v3
	buffer_wbl2
	global_store_dwordx2 v[10:11], v[8:9], off
	s_sendmsg sendmsg(MSG_INTERRUPT)
.LBB14_242:
	s_or_b64 exec, exec, s[12:13]
	s_branch .LBB14_246
.LBB14_243:                             ;   in Loop: Header=BB14_246 Depth=1
	s_or_b64 exec, exec, s[12:13]
	v_readfirstlane_b32 s12, v3
	s_cmp_eq_u32 s12, 0
	s_cbranch_scc1 .LBB14_245
; %bb.244:                              ;   in Loop: Header=BB14_246 Depth=1
	s_sleep 1
	s_cbranch_execnz .LBB14_246
	s_branch .LBB14_248
.LBB14_245:
	s_branch .LBB14_248
.LBB14_246:                             ; =>This Inner Loop Header: Depth=1
	v_mov_b32_e32 v3, 1
	s_and_saveexec_b64 s[12:13], s[4:5]
	s_cbranch_execz .LBB14_243
; %bb.247:                              ;   in Loop: Header=BB14_246 Depth=1
	global_load_dword v3, v[0:1], off offset:20 glc
	s_waitcnt vmcnt(0)
	buffer_invl2
	buffer_wbinvl1_vol
	v_and_b32_e32 v3, 1, v3
	s_branch .LBB14_243
.LBB14_248:
	global_load_dwordx2 v[10:11], v[4:5], off
	s_and_saveexec_b64 s[12:13], s[4:5]
	s_cbranch_execz .LBB14_251
; %bb.249:
	v_mov_b32_e32 v3, 0
	global_load_dwordx2 v[0:1], v3, s[10:11] offset:40
	global_load_dwordx2 v[4:5], v3, s[10:11] offset:24 glc
	global_load_dwordx2 v[8:9], v3, s[10:11]
	v_mov_b32_e32 v13, s7
	s_mov_b64 s[4:5], 0
	s_waitcnt vmcnt(2)
	v_add_co_u32_e32 v15, vcc, 1, v0
	v_addc_co_u32_e32 v16, vcc, 0, v1, vcc
	v_add_co_u32_e32 v12, vcc, s6, v15
	v_addc_co_u32_e32 v13, vcc, v16, v13, vcc
	v_cmp_eq_u64_e32 vcc, 0, v[12:13]
	v_cndmask_b32_e32 v13, v13, v16, vcc
	v_cndmask_b32_e32 v12, v12, v15, vcc
	v_and_b32_e32 v1, v13, v1
	v_and_b32_e32 v0, v12, v0
	v_mul_lo_u32 v1, v1, 24
	v_mul_hi_u32 v15, v0, 24
	v_mul_lo_u32 v0, v0, 24
	v_add_u32_e32 v1, v15, v1
	s_waitcnt vmcnt(0)
	v_add_co_u32_e32 v0, vcc, v8, v0
	v_addc_co_u32_e32 v1, vcc, v9, v1, vcc
	v_mov_b32_e32 v14, v4
	global_store_dwordx2 v[0:1], v[4:5], off
	v_mov_b32_e32 v15, v5
	buffer_wbl2
	s_waitcnt vmcnt(0)
	global_atomic_cmpswap_x2 v[14:15], v3, v[12:15], s[10:11] offset:24 glc
	s_waitcnt vmcnt(0)
	v_cmp_ne_u64_e32 vcc, v[14:15], v[4:5]
	s_and_b64 exec, exec, vcc
	s_cbranch_execz .LBB14_251
.LBB14_250:                             ; =>This Inner Loop Header: Depth=1
	s_sleep 1
	global_store_dwordx2 v[0:1], v[14:15], off
	buffer_wbl2
	s_waitcnt vmcnt(0)
	global_atomic_cmpswap_x2 v[4:5], v3, v[12:15], s[10:11] offset:24 glc
	s_waitcnt vmcnt(0)
	v_cmp_eq_u64_e32 vcc, v[4:5], v[14:15]
	s_or_b64 s[4:5], vcc, s[4:5]
	v_pk_mov_b32 v[14:15], v[4:5], v[4:5] op_sel:[0,1]
	s_andn2_b64 exec, exec, s[4:5]
	s_cbranch_execnz .LBB14_250
.LBB14_251:
	s_or_b64 exec, exec, s[12:13]
.LBB14_252:
	v_readfirstlane_b32 s4, v49
	v_cmp_eq_u32_e64 s[4:5], s4, v49
	v_pk_mov_b32 v[0:1], 0, 0
	s_and_saveexec_b64 s[6:7], s[4:5]
	s_cbranch_execz .LBB14_258
; %bb.253:
	v_mov_b32_e32 v3, 0
	global_load_dwordx2 v[14:15], v3, s[10:11] offset:24 glc
	s_waitcnt vmcnt(0)
	buffer_invl2
	buffer_wbinvl1_vol
	global_load_dwordx2 v[0:1], v3, s[10:11] offset:40
	global_load_dwordx2 v[4:5], v3, s[10:11]
	s_waitcnt vmcnt(1)
	v_and_b32_e32 v0, v0, v14
	v_and_b32_e32 v1, v1, v15
	v_mul_lo_u32 v1, v1, 24
	v_mul_hi_u32 v8, v0, 24
	v_mul_lo_u32 v0, v0, 24
	v_add_u32_e32 v1, v8, v1
	s_waitcnt vmcnt(0)
	v_add_co_u32_e32 v0, vcc, v4, v0
	v_addc_co_u32_e32 v1, vcc, v5, v1, vcc
	global_load_dwordx2 v[12:13], v[0:1], off glc
	s_waitcnt vmcnt(0)
	global_atomic_cmpswap_x2 v[0:1], v3, v[12:15], s[10:11] offset:24 glc
	s_waitcnt vmcnt(0)
	buffer_invl2
	buffer_wbinvl1_vol
	v_cmp_ne_u64_e32 vcc, v[0:1], v[14:15]
	s_and_saveexec_b64 s[12:13], vcc
	s_cbranch_execz .LBB14_257
; %bb.254:
	s_mov_b64 s[14:15], 0
.LBB14_255:                             ; =>This Inner Loop Header: Depth=1
	s_sleep 1
	global_load_dwordx2 v[4:5], v3, s[10:11] offset:40
	global_load_dwordx2 v[8:9], v3, s[10:11]
	v_pk_mov_b32 v[14:15], v[0:1], v[0:1] op_sel:[0,1]
	s_waitcnt vmcnt(1)
	v_and_b32_e32 v0, v4, v14
	s_waitcnt vmcnt(0)
	v_mad_u64_u32 v[0:1], s[16:17], v0, 24, v[8:9]
	v_and_b32_e32 v5, v5, v15
	v_mov_b32_e32 v4, v1
	v_mad_u64_u32 v[4:5], s[16:17], v5, 24, v[4:5]
	v_mov_b32_e32 v1, v4
	global_load_dwordx2 v[12:13], v[0:1], off glc
	s_waitcnt vmcnt(0)
	global_atomic_cmpswap_x2 v[0:1], v3, v[12:15], s[10:11] offset:24 glc
	s_waitcnt vmcnt(0)
	buffer_invl2
	buffer_wbinvl1_vol
	v_cmp_eq_u64_e32 vcc, v[0:1], v[14:15]
	s_or_b64 s[14:15], vcc, s[14:15]
	s_andn2_b64 exec, exec, s[14:15]
	s_cbranch_execnz .LBB14_255
; %bb.256:
	s_or_b64 exec, exec, s[14:15]
.LBB14_257:
	s_or_b64 exec, exec, s[12:13]
.LBB14_258:
	s_or_b64 exec, exec, s[6:7]
	s_waitcnt vmcnt(0)
	v_mov_b32_e32 v13, 0
	global_load_dwordx2 v[4:5], v13, s[10:11] offset:40
	global_load_dwordx4 v[14:17], v13, s[10:11]
	v_readfirstlane_b32 s6, v0
	v_readfirstlane_b32 s7, v1
	s_mov_b64 s[12:13], exec
	s_waitcnt vmcnt(1)
	v_readfirstlane_b32 s14, v4
	v_readfirstlane_b32 s15, v5
	s_and_b64 s[14:15], s[6:7], s[14:15]
	s_mul_i32 s16, s15, 24
	s_mul_hi_u32 s17, s14, 24
	s_mul_i32 s18, s14, 24
	s_add_i32 s16, s17, s16
	v_mov_b32_e32 v0, s16
	s_waitcnt vmcnt(0)
	v_add_co_u32_e32 v4, vcc, s18, v14
	v_addc_co_u32_e32 v5, vcc, v15, v0, vcc
	s_and_saveexec_b64 s[16:17], s[4:5]
	s_cbranch_execz .LBB14_260
; %bb.259:
	v_pk_mov_b32 v[18:19], s[12:13], s[12:13] op_sel:[0,1]
	v_mov_b32_e32 v20, 2
	v_mov_b32_e32 v21, 1
	global_store_dwordx4 v[4:5], v[18:21], off offset:8
.LBB14_260:
	s_or_b64 exec, exec, s[16:17]
	s_lshl_b64 s[12:13], s[14:15], 12
	v_mov_b32_e32 v1, s13
	v_add_co_u32_e32 v0, vcc, s12, v16
	v_addc_co_u32_e32 v1, vcc, v17, v1, vcc
	s_mov_b32 s12, 0
	s_movk_i32 s13, 0xff1f
	v_and_or_b32 v10, v10, s13, 32
	v_add_co_u32_e32 v8, vcc, v0, v48
	s_mov_b32 s13, s12
	v_addc_co_u32_e32 v9, vcc, 0, v1, vcc
	v_mov_b32_e32 v12, v2
	v_readfirstlane_b32 s16, v0
	v_readfirstlane_b32 s17, v1
	s_mov_b32 s14, s12
	s_mov_b32 s15, s12
	v_pk_mov_b32 v[0:1], s[12:13], s[12:13] op_sel:[0,1]
	v_pk_mov_b32 v[2:3], s[14:15], s[14:15] op_sel:[0,1]
	s_nop 0
	global_store_dwordx4 v48, v[10:13], s[16:17]
	global_store_dwordx4 v48, v[0:3], s[16:17] offset:16
	global_store_dwordx4 v48, v[0:3], s[16:17] offset:32
	;; [unrolled: 1-line block ×3, first 2 shown]
	s_and_saveexec_b64 s[12:13], s[4:5]
	s_cbranch_execz .LBB14_268
; %bb.261:
	v_mov_b32_e32 v12, 0
	global_load_dwordx2 v[18:19], v12, s[10:11] offset:32 glc
	global_load_dwordx2 v[0:1], v12, s[10:11] offset:40
	v_mov_b32_e32 v16, s6
	v_mov_b32_e32 v17, s7
	s_waitcnt vmcnt(0)
	v_readfirstlane_b32 s14, v0
	v_readfirstlane_b32 s15, v1
	s_and_b64 s[14:15], s[14:15], s[6:7]
	s_mul_i32 s15, s15, 24
	s_mul_hi_u32 s16, s14, 24
	s_mul_i32 s14, s14, 24
	s_add_i32 s15, s16, s15
	v_mov_b32_e32 v0, s15
	v_add_co_u32_e32 v10, vcc, s14, v14
	v_addc_co_u32_e32 v11, vcc, v15, v0, vcc
	global_store_dwordx2 v[10:11], v[18:19], off
	buffer_wbl2
	s_waitcnt vmcnt(0)
	global_atomic_cmpswap_x2 v[2:3], v12, v[16:19], s[10:11] offset:32 glc
	s_waitcnt vmcnt(0)
	v_cmp_ne_u64_e32 vcc, v[2:3], v[18:19]
	s_and_saveexec_b64 s[14:15], vcc
	s_cbranch_execz .LBB14_264
; %bb.262:
	s_mov_b64 s[16:17], 0
.LBB14_263:                             ; =>This Inner Loop Header: Depth=1
	s_sleep 1
	global_store_dwordx2 v[10:11], v[2:3], off
	v_mov_b32_e32 v0, s6
	v_mov_b32_e32 v1, s7
	buffer_wbl2
	s_waitcnt vmcnt(0)
	global_atomic_cmpswap_x2 v[0:1], v12, v[0:3], s[10:11] offset:32 glc
	s_waitcnt vmcnt(0)
	v_cmp_eq_u64_e32 vcc, v[0:1], v[2:3]
	s_or_b64 s[16:17], vcc, s[16:17]
	v_pk_mov_b32 v[2:3], v[0:1], v[0:1] op_sel:[0,1]
	s_andn2_b64 exec, exec, s[16:17]
	s_cbranch_execnz .LBB14_263
.LBB14_264:
	s_or_b64 exec, exec, s[14:15]
	v_mov_b32_e32 v3, 0
	global_load_dwordx2 v[0:1], v3, s[10:11] offset:16
	s_mov_b64 s[14:15], exec
	v_mbcnt_lo_u32_b32 v2, s14, 0
	v_mbcnt_hi_u32_b32 v2, s15, v2
	v_cmp_eq_u32_e32 vcc, 0, v2
	s_and_saveexec_b64 s[16:17], vcc
	s_cbranch_execz .LBB14_266
; %bb.265:
	s_bcnt1_i32_b64 s14, s[14:15]
	v_mov_b32_e32 v2, s14
	buffer_wbl2
	s_waitcnt vmcnt(0)
	global_atomic_add_x2 v[0:1], v[2:3], off offset:8
.LBB14_266:
	s_or_b64 exec, exec, s[16:17]
	s_waitcnt vmcnt(0)
	global_load_dwordx2 v[2:3], v[0:1], off offset:16
	s_waitcnt vmcnt(0)
	v_cmp_eq_u64_e32 vcc, 0, v[2:3]
	s_cbranch_vccnz .LBB14_268
; %bb.267:
	global_load_dword v0, v[0:1], off offset:24
	v_mov_b32_e32 v1, 0
	buffer_wbl2
	s_waitcnt vmcnt(0)
	global_store_dwordx2 v[2:3], v[0:1], off
	v_and_b32_e32 v0, 0xffffff, v0
	v_readfirstlane_b32 m0, v0
	s_sendmsg sendmsg(MSG_INTERRUPT)
.LBB14_268:
	s_or_b64 exec, exec, s[12:13]
	s_branch .LBB14_272
.LBB14_269:                             ;   in Loop: Header=BB14_272 Depth=1
	s_or_b64 exec, exec, s[12:13]
	v_readfirstlane_b32 s12, v0
	s_cmp_eq_u32 s12, 0
	s_cbranch_scc1 .LBB14_271
; %bb.270:                              ;   in Loop: Header=BB14_272 Depth=1
	s_sleep 1
	s_cbranch_execnz .LBB14_272
	s_branch .LBB14_274
.LBB14_271:
	s_branch .LBB14_274
.LBB14_272:                             ; =>This Inner Loop Header: Depth=1
	v_mov_b32_e32 v0, 1
	s_and_saveexec_b64 s[12:13], s[4:5]
	s_cbranch_execz .LBB14_269
; %bb.273:                              ;   in Loop: Header=BB14_272 Depth=1
	global_load_dword v0, v[4:5], off offset:20 glc
	s_waitcnt vmcnt(0)
	buffer_invl2
	buffer_wbinvl1_vol
	v_and_b32_e32 v0, 1, v0
	s_branch .LBB14_269
.LBB14_274:
	global_load_dwordx2 v[0:1], v[8:9], off
	s_and_saveexec_b64 s[12:13], s[4:5]
	s_cbranch_execz .LBB14_277
; %bb.275:
	v_mov_b32_e32 v10, 0
	global_load_dwordx2 v[8:9], v10, s[10:11] offset:40
	global_load_dwordx2 v[12:13], v10, s[10:11] offset:24 glc
	global_load_dwordx2 v[14:15], v10, s[10:11]
	v_mov_b32_e32 v3, s7
	s_mov_b64 s[4:5], 0
	s_waitcnt vmcnt(2)
	v_add_co_u32_e32 v5, vcc, 1, v8
	v_addc_co_u32_e32 v11, vcc, 0, v9, vcc
	v_add_co_u32_e32 v2, vcc, s6, v5
	v_addc_co_u32_e32 v3, vcc, v11, v3, vcc
	v_cmp_eq_u64_e32 vcc, 0, v[2:3]
	v_cndmask_b32_e32 v3, v3, v11, vcc
	v_cndmask_b32_e32 v2, v2, v5, vcc
	v_and_b32_e32 v5, v3, v9
	v_and_b32_e32 v8, v2, v8
	v_mul_lo_u32 v5, v5, 24
	v_mul_hi_u32 v9, v8, 24
	v_mul_lo_u32 v8, v8, 24
	v_add_u32_e32 v5, v9, v5
	s_waitcnt vmcnt(0)
	v_add_co_u32_e32 v8, vcc, v14, v8
	v_addc_co_u32_e32 v9, vcc, v15, v5, vcc
	v_mov_b32_e32 v4, v12
	global_store_dwordx2 v[8:9], v[12:13], off
	v_mov_b32_e32 v5, v13
	buffer_wbl2
	s_waitcnt vmcnt(0)
	global_atomic_cmpswap_x2 v[4:5], v10, v[2:5], s[10:11] offset:24 glc
	s_waitcnt vmcnt(0)
	v_cmp_ne_u64_e32 vcc, v[4:5], v[12:13]
	s_and_b64 exec, exec, vcc
	s_cbranch_execz .LBB14_277
.LBB14_276:                             ; =>This Inner Loop Header: Depth=1
	s_sleep 1
	global_store_dwordx2 v[8:9], v[4:5], off
	buffer_wbl2
	s_waitcnt vmcnt(0)
	global_atomic_cmpswap_x2 v[12:13], v10, v[2:5], s[10:11] offset:24 glc
	s_waitcnt vmcnt(0)
	v_cmp_eq_u64_e32 vcc, v[12:13], v[4:5]
	s_or_b64 s[4:5], vcc, s[4:5]
	v_pk_mov_b32 v[4:5], v[12:13], v[12:13] op_sel:[0,1]
	s_andn2_b64 exec, exec, s[4:5]
	s_cbranch_execnz .LBB14_276
.LBB14_277:
	s_or_b64 exec, exec, s[12:13]
	s_mov_b64 s[4:5], 0
	v_pk_mov_b32 v[4:5], v[36:37], v[36:37] op_sel:[0,1]
.LBB14_278:                             ; =>This Inner Loop Header: Depth=1
	flat_load_ubyte v8, v[4:5]
	v_add_co_u32_e32 v2, vcc, 1, v4
	v_addc_co_u32_e32 v3, vcc, 0, v5, vcc
	v_pk_mov_b32 v[4:5], v[2:3], v[2:3] op_sel:[0,1]
	s_waitcnt vmcnt(0) lgkmcnt(0)
	v_cmp_eq_u16_e32 vcc, 0, v8
	s_or_b64 s[4:5], vcc, s[4:5]
	s_andn2_b64 exec, exec, s[4:5]
	s_cbranch_execnz .LBB14_278
; %bb.279:
	s_or_b64 exec, exec, s[4:5]
	s_mov_b64 s[6:7], 0
	v_cmp_ne_u64_e32 vcc, 0, v[36:37]
	s_and_saveexec_b64 s[4:5], vcc
	s_xor_b64 s[12:13], exec, s[4:5]
	s_cbranch_execz .LBB14_365
; %bb.280:
	v_sub_u32_e32 v28, v2, v36
	v_ashrrev_i32_e32 v29, 31, v28
	v_and_b32_e32 v30, 2, v0
	v_mov_b32_e32 v33, 0
	v_and_b32_e32 v0, -3, v0
	s_mov_b32 s22, 0
	s_movk_i32 s23, 0xff1f
	v_mov_b32_e32 v4, 2
	v_mov_b32_e32 v5, 1
	s_branch .LBB14_282
.LBB14_281:                             ;   in Loop: Header=BB14_282 Depth=1
	s_or_b64 exec, exec, s[16:17]
	v_sub_co_u32_e32 v28, vcc, v28, v34
	v_subb_co_u32_e32 v29, vcc, v29, v35, vcc
	v_cmp_eq_u64_e32 vcc, 0, v[28:29]
	s_or_b64 s[6:7], vcc, s[6:7]
	v_add_co_u32_e32 v36, vcc, v36, v34
	v_addc_co_u32_e32 v37, vcc, v37, v35, vcc
	s_andn2_b64 exec, exec, s[6:7]
	s_cbranch_execz .LBB14_364
.LBB14_282:                             ; =>This Loop Header: Depth=1
                                        ;     Child Loop BB14_285 Depth 2
                                        ;     Child Loop BB14_293 Depth 2
	;; [unrolled: 1-line block ×11, first 2 shown]
	v_cmp_gt_u64_e32 vcc, 56, v[28:29]
	v_cndmask_b32_e32 v35, 0, v29, vcc
	v_cndmask_b32_e32 v34, 56, v28, vcc
	v_cmp_gt_u64_e32 vcc, 8, v[28:29]
                                        ; implicit-def: $vgpr10_vgpr11
                                        ; implicit-def: $sgpr14
	s_and_saveexec_b64 s[4:5], vcc
	s_xor_b64 s[4:5], exec, s[4:5]
	s_cbranch_execz .LBB14_288
; %bb.283:                              ;   in Loop: Header=BB14_282 Depth=1
	s_mov_b64 s[16:17], 0
	v_cmp_ne_u64_e32 vcc, 0, v[28:29]
	v_pk_mov_b32 v[10:11], 0, 0
	s_and_saveexec_b64 s[14:15], vcc
	s_cbranch_execz .LBB14_287
; %bb.284:                              ;   in Loop: Header=BB14_282 Depth=1
	s_waitcnt vmcnt(0)
	v_lshlrev_b64 v[2:3], 3, v[34:35]
	v_pk_mov_b32 v[10:11], 0, 0
	v_pk_mov_b32 v[8:9], v[36:37], v[36:37] op_sel:[0,1]
	s_mov_b64 s[18:19], 0
.LBB14_285:                             ;   Parent Loop BB14_282 Depth=1
                                        ; =>  This Inner Loop Header: Depth=2
	flat_load_ubyte v3, v[8:9]
	v_mov_b32_e32 v13, s22
	v_add_co_u32_e32 v8, vcc, 1, v8
	v_addc_co_u32_e32 v9, vcc, 0, v9, vcc
	s_waitcnt vmcnt(0) lgkmcnt(0)
	v_and_b32_e32 v12, 0xffff, v3
	v_lshlrev_b64 v[12:13], s18, v[12:13]
	s_add_u32 s18, s18, 8
	s_addc_u32 s19, s19, 0
	v_cmp_eq_u32_e32 vcc, s18, v2
	v_or_b32_e32 v11, v13, v11
	s_or_b64 s[16:17], vcc, s[16:17]
	v_or_b32_e32 v10, v12, v10
	s_andn2_b64 exec, exec, s[16:17]
	s_cbranch_execnz .LBB14_285
; %bb.286:                              ;   in Loop: Header=BB14_282 Depth=1
	s_or_b64 exec, exec, s[16:17]
.LBB14_287:                             ;   in Loop: Header=BB14_282 Depth=1
	s_or_b64 exec, exec, s[14:15]
	s_mov_b32 s14, 0
.LBB14_288:                             ;   in Loop: Header=BB14_282 Depth=1
	s_or_saveexec_b64 s[4:5], s[4:5]
	v_mov_b32_e32 v8, s14
	s_waitcnt vmcnt(0)
	v_pk_mov_b32 v[2:3], v[36:37], v[36:37] op_sel:[0,1]
	s_xor_b64 exec, exec, s[4:5]
	s_cbranch_execz .LBB14_290
; %bb.289:                              ;   in Loop: Header=BB14_282 Depth=1
	flat_load_dwordx2 v[2:3], v[36:37]
	v_add_u32_e32 v8, -8, v34
	s_waitcnt vmcnt(0) lgkmcnt(0)
	v_and_b32_e32 v9, 0xff, v3
	v_and_b32_e32 v11, 0xff00, v3
	;; [unrolled: 1-line block ×4, first 2 shown]
	v_or3_b32 v10, v2, 0, 0
	v_or_b32_e32 v2, v9, v11
	v_or3_b32 v11, v2, v12, v3
	v_add_co_u32_e32 v2, vcc, 8, v36
	v_addc_co_u32_e32 v3, vcc, 0, v37, vcc
.LBB14_290:                             ;   in Loop: Header=BB14_282 Depth=1
	s_or_b64 exec, exec, s[4:5]
	v_cmp_gt_u32_e32 vcc, 8, v8
                                        ; implicit-def: $vgpr12_vgpr13
                                        ; implicit-def: $sgpr14
	s_and_saveexec_b64 s[4:5], vcc
	s_xor_b64 s[4:5], exec, s[4:5]
	s_cbranch_execz .LBB14_296
; %bb.291:                              ;   in Loop: Header=BB14_282 Depth=1
	v_cmp_ne_u32_e32 vcc, 0, v8
	v_pk_mov_b32 v[12:13], 0, 0
	s_and_saveexec_b64 s[14:15], vcc
	s_cbranch_execz .LBB14_295
; %bb.292:                              ;   in Loop: Header=BB14_282 Depth=1
	s_mov_b64 s[16:17], 0
	v_pk_mov_b32 v[12:13], 0, 0
	s_mov_b64 s[18:19], 0
	s_mov_b64 s[20:21], 0
.LBB14_293:                             ;   Parent Loop BB14_282 Depth=1
                                        ; =>  This Inner Loop Header: Depth=2
	v_mov_b32_e32 v9, s21
	v_add_co_u32_e32 v14, vcc, s20, v2
	v_addc_co_u32_e32 v15, vcc, v3, v9, vcc
	flat_load_ubyte v9, v[14:15]
	s_add_u32 s20, s20, 1
	v_mov_b32_e32 v15, s22
	s_addc_u32 s21, s21, 0
	v_cmp_eq_u32_e32 vcc, s20, v8
	s_waitcnt vmcnt(0) lgkmcnt(0)
	v_and_b32_e32 v14, 0xffff, v9
	v_lshlrev_b64 v[14:15], s18, v[14:15]
	s_add_u32 s18, s18, 8
	s_addc_u32 s19, s19, 0
	v_or_b32_e32 v13, v15, v13
	s_or_b64 s[16:17], vcc, s[16:17]
	v_or_b32_e32 v12, v14, v12
	s_andn2_b64 exec, exec, s[16:17]
	s_cbranch_execnz .LBB14_293
; %bb.294:                              ;   in Loop: Header=BB14_282 Depth=1
	s_or_b64 exec, exec, s[16:17]
.LBB14_295:                             ;   in Loop: Header=BB14_282 Depth=1
	s_or_b64 exec, exec, s[14:15]
	s_mov_b32 s14, 0
                                        ; implicit-def: $vgpr8
.LBB14_296:                             ;   in Loop: Header=BB14_282 Depth=1
	s_or_saveexec_b64 s[4:5], s[4:5]
	v_mov_b32_e32 v9, s14
	s_xor_b64 exec, exec, s[4:5]
	s_cbranch_execz .LBB14_298
; %bb.297:                              ;   in Loop: Header=BB14_282 Depth=1
	flat_load_dwordx2 v[12:13], v[2:3]
	v_add_u32_e32 v9, -8, v8
	v_add_co_u32_e32 v2, vcc, 8, v2
	v_addc_co_u32_e32 v3, vcc, 0, v3, vcc
	s_waitcnt vmcnt(0) lgkmcnt(0)
	v_and_b32_e32 v8, 0xff, v13
	v_and_b32_e32 v14, 0xff00, v13
	;; [unrolled: 1-line block ×4, first 2 shown]
	v_or_b32_e32 v8, v8, v14
	v_or3_b32 v12, v12, 0, 0
	v_or3_b32 v13, v8, v15, v13
.LBB14_298:                             ;   in Loop: Header=BB14_282 Depth=1
	s_or_b64 exec, exec, s[4:5]
	v_cmp_gt_u32_e32 vcc, 8, v9
                                        ; implicit-def: $sgpr14
	s_and_saveexec_b64 s[4:5], vcc
	s_xor_b64 s[4:5], exec, s[4:5]
	s_cbranch_execz .LBB14_304
; %bb.299:                              ;   in Loop: Header=BB14_282 Depth=1
	v_cmp_ne_u32_e32 vcc, 0, v9
	v_pk_mov_b32 v[14:15], 0, 0
	s_and_saveexec_b64 s[14:15], vcc
	s_cbranch_execz .LBB14_303
; %bb.300:                              ;   in Loop: Header=BB14_282 Depth=1
	s_mov_b64 s[16:17], 0
	v_pk_mov_b32 v[14:15], 0, 0
	s_mov_b64 s[18:19], 0
	s_mov_b64 s[20:21], 0
.LBB14_301:                             ;   Parent Loop BB14_282 Depth=1
                                        ; =>  This Inner Loop Header: Depth=2
	v_mov_b32_e32 v8, s21
	v_add_co_u32_e32 v16, vcc, s20, v2
	v_addc_co_u32_e32 v17, vcc, v3, v8, vcc
	flat_load_ubyte v8, v[16:17]
	s_add_u32 s20, s20, 1
	v_mov_b32_e32 v17, s22
	s_addc_u32 s21, s21, 0
	v_cmp_eq_u32_e32 vcc, s20, v9
	s_waitcnt vmcnt(0) lgkmcnt(0)
	v_and_b32_e32 v16, 0xffff, v8
	v_lshlrev_b64 v[16:17], s18, v[16:17]
	s_add_u32 s18, s18, 8
	s_addc_u32 s19, s19, 0
	v_or_b32_e32 v15, v17, v15
	s_or_b64 s[16:17], vcc, s[16:17]
	v_or_b32_e32 v14, v16, v14
	s_andn2_b64 exec, exec, s[16:17]
	s_cbranch_execnz .LBB14_301
; %bb.302:                              ;   in Loop: Header=BB14_282 Depth=1
	s_or_b64 exec, exec, s[16:17]
.LBB14_303:                             ;   in Loop: Header=BB14_282 Depth=1
	s_or_b64 exec, exec, s[14:15]
	s_mov_b32 s14, 0
                                        ; implicit-def: $vgpr9
.LBB14_304:                             ;   in Loop: Header=BB14_282 Depth=1
	s_or_saveexec_b64 s[4:5], s[4:5]
	v_mov_b32_e32 v8, s14
	s_xor_b64 exec, exec, s[4:5]
	s_cbranch_execz .LBB14_306
; %bb.305:                              ;   in Loop: Header=BB14_282 Depth=1
	flat_load_dwordx2 v[14:15], v[2:3]
	v_add_u32_e32 v8, -8, v9
	v_add_co_u32_e32 v2, vcc, 8, v2
	v_addc_co_u32_e32 v3, vcc, 0, v3, vcc
	s_waitcnt vmcnt(0) lgkmcnt(0)
	v_and_b32_e32 v9, 0xff, v15
	v_and_b32_e32 v16, 0xff00, v15
	;; [unrolled: 1-line block ×4, first 2 shown]
	v_or_b32_e32 v9, v9, v16
	v_or3_b32 v14, v14, 0, 0
	v_or3_b32 v15, v9, v17, v15
.LBB14_306:                             ;   in Loop: Header=BB14_282 Depth=1
	s_or_b64 exec, exec, s[4:5]
	v_cmp_gt_u32_e32 vcc, 8, v8
                                        ; implicit-def: $vgpr16_vgpr17
                                        ; implicit-def: $sgpr14
	s_and_saveexec_b64 s[4:5], vcc
	s_xor_b64 s[4:5], exec, s[4:5]
	s_cbranch_execz .LBB14_312
; %bb.307:                              ;   in Loop: Header=BB14_282 Depth=1
	v_cmp_ne_u32_e32 vcc, 0, v8
	v_pk_mov_b32 v[16:17], 0, 0
	s_and_saveexec_b64 s[14:15], vcc
	s_cbranch_execz .LBB14_311
; %bb.308:                              ;   in Loop: Header=BB14_282 Depth=1
	s_mov_b64 s[16:17], 0
	v_pk_mov_b32 v[16:17], 0, 0
	s_mov_b64 s[18:19], 0
	s_mov_b64 s[20:21], 0
.LBB14_309:                             ;   Parent Loop BB14_282 Depth=1
                                        ; =>  This Inner Loop Header: Depth=2
	v_mov_b32_e32 v9, s21
	v_add_co_u32_e32 v18, vcc, s20, v2
	v_addc_co_u32_e32 v19, vcc, v3, v9, vcc
	flat_load_ubyte v9, v[18:19]
	s_add_u32 s20, s20, 1
	v_mov_b32_e32 v19, s22
	s_addc_u32 s21, s21, 0
	v_cmp_eq_u32_e32 vcc, s20, v8
	s_waitcnt vmcnt(0) lgkmcnt(0)
	v_and_b32_e32 v18, 0xffff, v9
	v_lshlrev_b64 v[18:19], s18, v[18:19]
	s_add_u32 s18, s18, 8
	s_addc_u32 s19, s19, 0
	v_or_b32_e32 v17, v19, v17
	s_or_b64 s[16:17], vcc, s[16:17]
	v_or_b32_e32 v16, v18, v16
	s_andn2_b64 exec, exec, s[16:17]
	s_cbranch_execnz .LBB14_309
; %bb.310:                              ;   in Loop: Header=BB14_282 Depth=1
	s_or_b64 exec, exec, s[16:17]
.LBB14_311:                             ;   in Loop: Header=BB14_282 Depth=1
	s_or_b64 exec, exec, s[14:15]
	s_mov_b32 s14, 0
                                        ; implicit-def: $vgpr8
.LBB14_312:                             ;   in Loop: Header=BB14_282 Depth=1
	s_or_saveexec_b64 s[4:5], s[4:5]
	v_mov_b32_e32 v9, s14
	s_xor_b64 exec, exec, s[4:5]
	s_cbranch_execz .LBB14_314
; %bb.313:                              ;   in Loop: Header=BB14_282 Depth=1
	flat_load_dwordx2 v[16:17], v[2:3]
	v_add_u32_e32 v9, -8, v8
	v_add_co_u32_e32 v2, vcc, 8, v2
	v_addc_co_u32_e32 v3, vcc, 0, v3, vcc
	s_waitcnt vmcnt(0) lgkmcnt(0)
	v_and_b32_e32 v8, 0xff, v17
	v_and_b32_e32 v18, 0xff00, v17
	v_and_b32_e32 v19, 0xff0000, v17
	v_and_b32_e32 v17, 0xff000000, v17
	v_or_b32_e32 v8, v8, v18
	v_or3_b32 v16, v16, 0, 0
	v_or3_b32 v17, v8, v19, v17
.LBB14_314:                             ;   in Loop: Header=BB14_282 Depth=1
	s_or_b64 exec, exec, s[4:5]
	v_cmp_gt_u32_e32 vcc, 8, v9
                                        ; implicit-def: $sgpr14
	s_and_saveexec_b64 s[4:5], vcc
	s_xor_b64 s[4:5], exec, s[4:5]
	s_cbranch_execz .LBB14_320
; %bb.315:                              ;   in Loop: Header=BB14_282 Depth=1
	v_cmp_ne_u32_e32 vcc, 0, v9
	v_pk_mov_b32 v[18:19], 0, 0
	s_and_saveexec_b64 s[14:15], vcc
	s_cbranch_execz .LBB14_319
; %bb.316:                              ;   in Loop: Header=BB14_282 Depth=1
	s_mov_b64 s[16:17], 0
	v_pk_mov_b32 v[18:19], 0, 0
	s_mov_b64 s[18:19], 0
	s_mov_b64 s[20:21], 0
.LBB14_317:                             ;   Parent Loop BB14_282 Depth=1
                                        ; =>  This Inner Loop Header: Depth=2
	v_mov_b32_e32 v8, s21
	v_add_co_u32_e32 v20, vcc, s20, v2
	v_addc_co_u32_e32 v21, vcc, v3, v8, vcc
	flat_load_ubyte v8, v[20:21]
	s_add_u32 s20, s20, 1
	v_mov_b32_e32 v21, s22
	s_addc_u32 s21, s21, 0
	v_cmp_eq_u32_e32 vcc, s20, v9
	s_waitcnt vmcnt(0) lgkmcnt(0)
	v_and_b32_e32 v20, 0xffff, v8
	v_lshlrev_b64 v[20:21], s18, v[20:21]
	s_add_u32 s18, s18, 8
	s_addc_u32 s19, s19, 0
	v_or_b32_e32 v19, v21, v19
	s_or_b64 s[16:17], vcc, s[16:17]
	v_or_b32_e32 v18, v20, v18
	s_andn2_b64 exec, exec, s[16:17]
	s_cbranch_execnz .LBB14_317
; %bb.318:                              ;   in Loop: Header=BB14_282 Depth=1
	s_or_b64 exec, exec, s[16:17]
.LBB14_319:                             ;   in Loop: Header=BB14_282 Depth=1
	s_or_b64 exec, exec, s[14:15]
	s_mov_b32 s14, 0
                                        ; implicit-def: $vgpr9
.LBB14_320:                             ;   in Loop: Header=BB14_282 Depth=1
	s_or_saveexec_b64 s[4:5], s[4:5]
	v_mov_b32_e32 v8, s14
	s_xor_b64 exec, exec, s[4:5]
	s_cbranch_execz .LBB14_322
; %bb.321:                              ;   in Loop: Header=BB14_282 Depth=1
	flat_load_dwordx2 v[18:19], v[2:3]
	v_add_u32_e32 v8, -8, v9
	v_add_co_u32_e32 v2, vcc, 8, v2
	v_addc_co_u32_e32 v3, vcc, 0, v3, vcc
	s_waitcnt vmcnt(0) lgkmcnt(0)
	v_and_b32_e32 v9, 0xff, v19
	v_and_b32_e32 v20, 0xff00, v19
	v_and_b32_e32 v21, 0xff0000, v19
	v_and_b32_e32 v19, 0xff000000, v19
	v_or_b32_e32 v9, v9, v20
	v_or3_b32 v18, v18, 0, 0
	v_or3_b32 v19, v9, v21, v19
.LBB14_322:                             ;   in Loop: Header=BB14_282 Depth=1
	s_or_b64 exec, exec, s[4:5]
	v_cmp_gt_u32_e32 vcc, 8, v8
                                        ; implicit-def: $vgpr20_vgpr21
                                        ; implicit-def: $sgpr14
	s_and_saveexec_b64 s[4:5], vcc
	s_xor_b64 s[4:5], exec, s[4:5]
	s_cbranch_execz .LBB14_328
; %bb.323:                              ;   in Loop: Header=BB14_282 Depth=1
	v_cmp_ne_u32_e32 vcc, 0, v8
	v_pk_mov_b32 v[20:21], 0, 0
	s_and_saveexec_b64 s[14:15], vcc
	s_cbranch_execz .LBB14_327
; %bb.324:                              ;   in Loop: Header=BB14_282 Depth=1
	s_mov_b64 s[16:17], 0
	v_pk_mov_b32 v[20:21], 0, 0
	s_mov_b64 s[18:19], 0
	s_mov_b64 s[20:21], 0
.LBB14_325:                             ;   Parent Loop BB14_282 Depth=1
                                        ; =>  This Inner Loop Header: Depth=2
	v_mov_b32_e32 v9, s21
	v_add_co_u32_e32 v22, vcc, s20, v2
	v_addc_co_u32_e32 v23, vcc, v3, v9, vcc
	flat_load_ubyte v9, v[22:23]
	s_add_u32 s20, s20, 1
	v_mov_b32_e32 v23, s22
	s_addc_u32 s21, s21, 0
	v_cmp_eq_u32_e32 vcc, s20, v8
	s_waitcnt vmcnt(0) lgkmcnt(0)
	v_and_b32_e32 v22, 0xffff, v9
	v_lshlrev_b64 v[22:23], s18, v[22:23]
	s_add_u32 s18, s18, 8
	s_addc_u32 s19, s19, 0
	v_or_b32_e32 v21, v23, v21
	s_or_b64 s[16:17], vcc, s[16:17]
	v_or_b32_e32 v20, v22, v20
	s_andn2_b64 exec, exec, s[16:17]
	s_cbranch_execnz .LBB14_325
; %bb.326:                              ;   in Loop: Header=BB14_282 Depth=1
	s_or_b64 exec, exec, s[16:17]
.LBB14_327:                             ;   in Loop: Header=BB14_282 Depth=1
	s_or_b64 exec, exec, s[14:15]
	s_mov_b32 s14, 0
                                        ; implicit-def: $vgpr8
.LBB14_328:                             ;   in Loop: Header=BB14_282 Depth=1
	s_or_saveexec_b64 s[4:5], s[4:5]
	v_mov_b32_e32 v9, s14
	s_xor_b64 exec, exec, s[4:5]
	s_cbranch_execz .LBB14_330
; %bb.329:                              ;   in Loop: Header=BB14_282 Depth=1
	flat_load_dwordx2 v[20:21], v[2:3]
	v_add_u32_e32 v9, -8, v8
	v_add_co_u32_e32 v2, vcc, 8, v2
	v_addc_co_u32_e32 v3, vcc, 0, v3, vcc
	s_waitcnt vmcnt(0) lgkmcnt(0)
	v_and_b32_e32 v8, 0xff, v21
	v_and_b32_e32 v22, 0xff00, v21
	;; [unrolled: 1-line block ×4, first 2 shown]
	v_or_b32_e32 v8, v8, v22
	v_or3_b32 v20, v20, 0, 0
	v_or3_b32 v21, v8, v23, v21
.LBB14_330:                             ;   in Loop: Header=BB14_282 Depth=1
	s_or_b64 exec, exec, s[4:5]
	v_cmp_gt_u32_e32 vcc, 8, v9
	s_and_saveexec_b64 s[4:5], vcc
	s_xor_b64 s[4:5], exec, s[4:5]
	s_cbranch_execz .LBB14_336
; %bb.331:                              ;   in Loop: Header=BB14_282 Depth=1
	v_cmp_ne_u32_e32 vcc, 0, v9
	v_pk_mov_b32 v[22:23], 0, 0
	s_and_saveexec_b64 s[14:15], vcc
	s_cbranch_execz .LBB14_335
; %bb.332:                              ;   in Loop: Header=BB14_282 Depth=1
	s_mov_b64 s[16:17], 0
	v_pk_mov_b32 v[22:23], 0, 0
	s_mov_b64 s[18:19], 0
.LBB14_333:                             ;   Parent Loop BB14_282 Depth=1
                                        ; =>  This Inner Loop Header: Depth=2
	flat_load_ubyte v8, v[2:3]
	v_mov_b32_e32 v25, s22
	v_add_co_u32_e32 v2, vcc, 1, v2
	v_add_u32_e32 v9, -1, v9
	v_addc_co_u32_e32 v3, vcc, 0, v3, vcc
	v_cmp_eq_u32_e32 vcc, 0, v9
	s_waitcnt vmcnt(0) lgkmcnt(0)
	v_and_b32_e32 v24, 0xffff, v8
	v_lshlrev_b64 v[24:25], s18, v[24:25]
	s_add_u32 s18, s18, 8
	s_addc_u32 s19, s19, 0
	v_or_b32_e32 v23, v25, v23
	s_or_b64 s[16:17], vcc, s[16:17]
	v_or_b32_e32 v22, v24, v22
	s_andn2_b64 exec, exec, s[16:17]
	s_cbranch_execnz .LBB14_333
; %bb.334:                              ;   in Loop: Header=BB14_282 Depth=1
	s_or_b64 exec, exec, s[16:17]
.LBB14_335:                             ;   in Loop: Header=BB14_282 Depth=1
	s_or_b64 exec, exec, s[14:15]
                                        ; implicit-def: $vgpr2_vgpr3
.LBB14_336:                             ;   in Loop: Header=BB14_282 Depth=1
	s_andn2_saveexec_b64 s[4:5], s[4:5]
	s_cbranch_execz .LBB14_338
; %bb.337:                              ;   in Loop: Header=BB14_282 Depth=1
	flat_load_dwordx2 v[2:3], v[2:3]
	s_waitcnt vmcnt(0) lgkmcnt(0)
	v_and_b32_e32 v8, 0xff, v3
	v_and_b32_e32 v9, 0xff00, v3
	;; [unrolled: 1-line block ×4, first 2 shown]
	v_or_b32_e32 v8, v8, v9
	v_or3_b32 v23, v8, v22, v3
	v_or3_b32 v22, v2, 0, 0
.LBB14_338:                             ;   in Loop: Header=BB14_282 Depth=1
	s_or_b64 exec, exec, s[4:5]
	v_readfirstlane_b32 s4, v49
	v_cmp_eq_u32_e64 s[4:5], s4, v49
	v_pk_mov_b32 v[2:3], 0, 0
	s_and_saveexec_b64 s[14:15], s[4:5]
	s_cbranch_execz .LBB14_344
; %bb.339:                              ;   in Loop: Header=BB14_282 Depth=1
	global_load_dwordx2 v[26:27], v33, s[10:11] offset:24 glc
	s_waitcnt vmcnt(0)
	buffer_invl2
	buffer_wbinvl1_vol
	global_load_dwordx2 v[2:3], v33, s[10:11] offset:40
	global_load_dwordx2 v[8:9], v33, s[10:11]
	s_waitcnt vmcnt(1)
	v_and_b32_e32 v2, v2, v26
	v_and_b32_e32 v3, v3, v27
	v_mul_lo_u32 v3, v3, 24
	v_mul_hi_u32 v24, v2, 24
	v_mul_lo_u32 v2, v2, 24
	v_add_u32_e32 v3, v24, v3
	s_waitcnt vmcnt(0)
	v_add_co_u32_e32 v2, vcc, v8, v2
	v_addc_co_u32_e32 v3, vcc, v9, v3, vcc
	global_load_dwordx2 v[24:25], v[2:3], off glc
	s_waitcnt vmcnt(0)
	global_atomic_cmpswap_x2 v[2:3], v33, v[24:27], s[10:11] offset:24 glc
	s_waitcnt vmcnt(0)
	buffer_invl2
	buffer_wbinvl1_vol
	v_cmp_ne_u64_e32 vcc, v[2:3], v[26:27]
	s_and_saveexec_b64 s[16:17], vcc
	s_cbranch_execz .LBB14_343
; %bb.340:                              ;   in Loop: Header=BB14_282 Depth=1
	s_mov_b64 s[18:19], 0
.LBB14_341:                             ;   Parent Loop BB14_282 Depth=1
                                        ; =>  This Inner Loop Header: Depth=2
	s_sleep 1
	global_load_dwordx2 v[8:9], v33, s[10:11] offset:40
	global_load_dwordx2 v[24:25], v33, s[10:11]
	v_pk_mov_b32 v[26:27], v[2:3], v[2:3] op_sel:[0,1]
	s_waitcnt vmcnt(1)
	v_and_b32_e32 v2, v8, v26
	s_waitcnt vmcnt(0)
	v_mad_u64_u32 v[2:3], s[20:21], v2, 24, v[24:25]
	v_and_b32_e32 v9, v9, v27
	v_mov_b32_e32 v8, v3
	v_mad_u64_u32 v[8:9], s[20:21], v9, 24, v[8:9]
	v_mov_b32_e32 v3, v8
	global_load_dwordx2 v[24:25], v[2:3], off glc
	s_waitcnt vmcnt(0)
	global_atomic_cmpswap_x2 v[2:3], v33, v[24:27], s[10:11] offset:24 glc
	s_waitcnt vmcnt(0)
	buffer_invl2
	buffer_wbinvl1_vol
	v_cmp_eq_u64_e32 vcc, v[2:3], v[26:27]
	s_or_b64 s[18:19], vcc, s[18:19]
	s_andn2_b64 exec, exec, s[18:19]
	s_cbranch_execnz .LBB14_341
; %bb.342:                              ;   in Loop: Header=BB14_282 Depth=1
	s_or_b64 exec, exec, s[18:19]
.LBB14_343:                             ;   in Loop: Header=BB14_282 Depth=1
	s_or_b64 exec, exec, s[16:17]
.LBB14_344:                             ;   in Loop: Header=BB14_282 Depth=1
	s_or_b64 exec, exec, s[14:15]
	global_load_dwordx2 v[8:9], v33, s[10:11] offset:40
	global_load_dwordx4 v[24:27], v33, s[10:11]
	v_readfirstlane_b32 s14, v2
	v_readfirstlane_b32 s15, v3
	s_mov_b64 s[16:17], exec
	s_waitcnt vmcnt(1)
	v_readfirstlane_b32 s18, v8
	v_readfirstlane_b32 s19, v9
	s_and_b64 s[18:19], s[14:15], s[18:19]
	s_mul_i32 s20, s19, 24
	s_mul_hi_u32 s21, s18, 24
	s_mul_i32 s24, s18, 24
	s_add_i32 s20, s21, s20
	v_mov_b32_e32 v2, s20
	s_waitcnt vmcnt(0)
	v_add_co_u32_e32 v38, vcc, s24, v24
	v_addc_co_u32_e32 v39, vcc, v25, v2, vcc
	s_and_saveexec_b64 s[20:21], s[4:5]
	s_cbranch_execz .LBB14_346
; %bb.345:                              ;   in Loop: Header=BB14_282 Depth=1
	v_pk_mov_b32 v[2:3], s[16:17], s[16:17] op_sel:[0,1]
	global_store_dwordx4 v[38:39], v[2:5], off offset:8
.LBB14_346:                             ;   in Loop: Header=BB14_282 Depth=1
	s_or_b64 exec, exec, s[20:21]
	s_lshl_b64 s[16:17], s[18:19], 12
	v_mov_b32_e32 v2, s17
	v_add_co_u32_e32 v26, vcc, s16, v26
	v_addc_co_u32_e32 v27, vcc, v27, v2, vcc
	v_or_b32_e32 v2, 0, v1
	v_cmp_lt_u64_e32 vcc, 56, v[28:29]
	v_or_b32_e32 v3, v0, v30
	v_cndmask_b32_e32 v9, v2, v1, vcc
	v_lshl_add_u32 v1, v34, 2, 28
	v_cndmask_b32_e32 v0, v3, v0, vcc
	v_and_b32_e32 v1, 0x1e0, v1
	v_and_or_b32 v8, v0, s23, v1
	v_readfirstlane_b32 s16, v26
	v_readfirstlane_b32 s17, v27
	s_nop 4
	global_store_dwordx4 v48, v[8:11], s[16:17]
	global_store_dwordx4 v48, v[12:15], s[16:17] offset:16
	global_store_dwordx4 v48, v[16:19], s[16:17] offset:32
	;; [unrolled: 1-line block ×3, first 2 shown]
	s_and_saveexec_b64 s[16:17], s[4:5]
	s_cbranch_execz .LBB14_354
; %bb.347:                              ;   in Loop: Header=BB14_282 Depth=1
	global_load_dwordx2 v[12:13], v33, s[10:11] offset:32 glc
	global_load_dwordx2 v[0:1], v33, s[10:11] offset:40
	v_mov_b32_e32 v10, s14
	v_mov_b32_e32 v11, s15
	s_waitcnt vmcnt(0)
	v_readfirstlane_b32 s18, v0
	v_readfirstlane_b32 s19, v1
	s_and_b64 s[18:19], s[18:19], s[14:15]
	s_mul_i32 s19, s19, 24
	s_mul_hi_u32 s20, s18, 24
	s_mul_i32 s18, s18, 24
	s_add_i32 s19, s20, s19
	v_mov_b32_e32 v0, s19
	v_add_co_u32_e32 v8, vcc, s18, v24
	v_addc_co_u32_e32 v9, vcc, v25, v0, vcc
	global_store_dwordx2 v[8:9], v[12:13], off
	buffer_wbl2
	s_waitcnt vmcnt(0)
	global_atomic_cmpswap_x2 v[2:3], v33, v[10:13], s[10:11] offset:32 glc
	s_waitcnt vmcnt(0)
	v_cmp_ne_u64_e32 vcc, v[2:3], v[12:13]
	s_and_saveexec_b64 s[18:19], vcc
	s_cbranch_execz .LBB14_350
; %bb.348:                              ;   in Loop: Header=BB14_282 Depth=1
	s_mov_b64 s[20:21], 0
.LBB14_349:                             ;   Parent Loop BB14_282 Depth=1
                                        ; =>  This Inner Loop Header: Depth=2
	s_sleep 1
	global_store_dwordx2 v[8:9], v[2:3], off
	v_mov_b32_e32 v0, s14
	v_mov_b32_e32 v1, s15
	buffer_wbl2
	s_waitcnt vmcnt(0)
	global_atomic_cmpswap_x2 v[0:1], v33, v[0:3], s[10:11] offset:32 glc
	s_waitcnt vmcnt(0)
	v_cmp_eq_u64_e32 vcc, v[0:1], v[2:3]
	s_or_b64 s[20:21], vcc, s[20:21]
	v_pk_mov_b32 v[2:3], v[0:1], v[0:1] op_sel:[0,1]
	s_andn2_b64 exec, exec, s[20:21]
	s_cbranch_execnz .LBB14_349
.LBB14_350:                             ;   in Loop: Header=BB14_282 Depth=1
	s_or_b64 exec, exec, s[18:19]
	global_load_dwordx2 v[0:1], v33, s[10:11] offset:16
	s_mov_b64 s[20:21], exec
	v_mbcnt_lo_u32_b32 v2, s20, 0
	v_mbcnt_hi_u32_b32 v2, s21, v2
	v_cmp_eq_u32_e32 vcc, 0, v2
	s_and_saveexec_b64 s[18:19], vcc
	s_cbranch_execz .LBB14_352
; %bb.351:                              ;   in Loop: Header=BB14_282 Depth=1
	s_bcnt1_i32_b64 s20, s[20:21]
	v_mov_b32_e32 v32, s20
	buffer_wbl2
	s_waitcnt vmcnt(0)
	global_atomic_add_x2 v[0:1], v[32:33], off offset:8
.LBB14_352:                             ;   in Loop: Header=BB14_282 Depth=1
	s_or_b64 exec, exec, s[18:19]
	s_waitcnt vmcnt(0)
	global_load_dwordx2 v[2:3], v[0:1], off offset:16
	s_waitcnt vmcnt(0)
	v_cmp_eq_u64_e32 vcc, 0, v[2:3]
	s_cbranch_vccnz .LBB14_354
; %bb.353:                              ;   in Loop: Header=BB14_282 Depth=1
	global_load_dword v32, v[0:1], off offset:24
	s_waitcnt vmcnt(0)
	v_and_b32_e32 v0, 0xffffff, v32
	v_readfirstlane_b32 m0, v0
	buffer_wbl2
	global_store_dwordx2 v[2:3], v[32:33], off
	s_sendmsg sendmsg(MSG_INTERRUPT)
.LBB14_354:                             ;   in Loop: Header=BB14_282 Depth=1
	s_or_b64 exec, exec, s[16:17]
	v_add_co_u32_e32 v0, vcc, v26, v48
	v_addc_co_u32_e32 v1, vcc, 0, v27, vcc
	s_branch .LBB14_358
.LBB14_355:                             ;   in Loop: Header=BB14_358 Depth=2
	s_or_b64 exec, exec, s[16:17]
	v_readfirstlane_b32 s16, v2
	s_cmp_eq_u32 s16, 0
	s_cbranch_scc1 .LBB14_357
; %bb.356:                              ;   in Loop: Header=BB14_358 Depth=2
	s_sleep 1
	s_cbranch_execnz .LBB14_358
	s_branch .LBB14_360
.LBB14_357:                             ;   in Loop: Header=BB14_282 Depth=1
	s_branch .LBB14_360
.LBB14_358:                             ;   Parent Loop BB14_282 Depth=1
                                        ; =>  This Inner Loop Header: Depth=2
	v_mov_b32_e32 v2, 1
	s_and_saveexec_b64 s[16:17], s[4:5]
	s_cbranch_execz .LBB14_355
; %bb.359:                              ;   in Loop: Header=BB14_358 Depth=2
	global_load_dword v2, v[38:39], off offset:20 glc
	s_waitcnt vmcnt(0)
	buffer_invl2
	buffer_wbinvl1_vol
	v_and_b32_e32 v2, 1, v2
	s_branch .LBB14_355
.LBB14_360:                             ;   in Loop: Header=BB14_282 Depth=1
	global_load_dwordx4 v[0:3], v[0:1], off
	s_and_saveexec_b64 s[16:17], s[4:5]
	s_cbranch_execz .LBB14_281
; %bb.361:                              ;   in Loop: Header=BB14_282 Depth=1
	global_load_dwordx2 v[2:3], v33, s[10:11] offset:40
	global_load_dwordx2 v[12:13], v33, s[10:11] offset:24 glc
	global_load_dwordx2 v[14:15], v33, s[10:11]
	v_mov_b32_e32 v9, s15
	s_waitcnt vmcnt(2)
	v_add_co_u32_e32 v11, vcc, 1, v2
	v_addc_co_u32_e32 v16, vcc, 0, v3, vcc
	v_add_co_u32_e32 v8, vcc, s14, v11
	v_addc_co_u32_e32 v9, vcc, v16, v9, vcc
	v_cmp_eq_u64_e32 vcc, 0, v[8:9]
	v_cndmask_b32_e32 v9, v9, v16, vcc
	v_cndmask_b32_e32 v8, v8, v11, vcc
	v_and_b32_e32 v3, v9, v3
	v_and_b32_e32 v2, v8, v2
	v_mul_lo_u32 v3, v3, 24
	v_mul_hi_u32 v11, v2, 24
	v_mul_lo_u32 v2, v2, 24
	v_add_u32_e32 v3, v11, v3
	s_waitcnt vmcnt(0)
	v_add_co_u32_e32 v2, vcc, v14, v2
	v_addc_co_u32_e32 v3, vcc, v15, v3, vcc
	v_mov_b32_e32 v10, v12
	global_store_dwordx2 v[2:3], v[12:13], off
	v_mov_b32_e32 v11, v13
	buffer_wbl2
	s_waitcnt vmcnt(0)
	global_atomic_cmpswap_x2 v[10:11], v33, v[8:11], s[10:11] offset:24 glc
	s_waitcnt vmcnt(0)
	v_cmp_ne_u64_e32 vcc, v[10:11], v[12:13]
	s_and_b64 exec, exec, vcc
	s_cbranch_execz .LBB14_281
; %bb.362:                              ;   in Loop: Header=BB14_282 Depth=1
	s_mov_b64 s[4:5], 0
.LBB14_363:                             ;   Parent Loop BB14_282 Depth=1
                                        ; =>  This Inner Loop Header: Depth=2
	s_sleep 1
	global_store_dwordx2 v[2:3], v[10:11], off
	buffer_wbl2
	s_waitcnt vmcnt(0)
	global_atomic_cmpswap_x2 v[12:13], v33, v[8:11], s[10:11] offset:24 glc
	s_waitcnt vmcnt(0)
	v_cmp_eq_u64_e32 vcc, v[12:13], v[10:11]
	s_or_b64 s[4:5], vcc, s[4:5]
	v_pk_mov_b32 v[10:11], v[12:13], v[12:13] op_sel:[0,1]
	s_andn2_b64 exec, exec, s[4:5]
	s_cbranch_execnz .LBB14_363
	s_branch .LBB14_281
.LBB14_364:
	s_or_b64 exec, exec, s[6:7]
                                        ; implicit-def: $vgpr48
                                        ; implicit-def: $vgpr49
.LBB14_365:
	s_andn2_saveexec_b64 s[6:7], s[12:13]
	s_cbranch_execz .LBB14_392
; %bb.366:
	v_readfirstlane_b32 s4, v49
	v_cmp_eq_u32_e64 s[4:5], s4, v49
	v_pk_mov_b32 v[4:5], 0, 0
	s_and_saveexec_b64 s[12:13], s[4:5]
	s_cbranch_execz .LBB14_372
; %bb.367:
	s_waitcnt vmcnt(0)
	v_mov_b32_e32 v2, 0
	global_load_dwordx2 v[10:11], v2, s[10:11] offset:24 glc
	s_waitcnt vmcnt(0)
	buffer_invl2
	buffer_wbinvl1_vol
	global_load_dwordx2 v[4:5], v2, s[10:11] offset:40
	global_load_dwordx2 v[8:9], v2, s[10:11]
	s_waitcnt vmcnt(1)
	v_and_b32_e32 v3, v4, v10
	v_and_b32_e32 v4, v5, v11
	v_mul_lo_u32 v4, v4, 24
	v_mul_hi_u32 v5, v3, 24
	v_mul_lo_u32 v3, v3, 24
	v_add_u32_e32 v5, v5, v4
	s_waitcnt vmcnt(0)
	v_add_co_u32_e32 v4, vcc, v8, v3
	v_addc_co_u32_e32 v5, vcc, v9, v5, vcc
	global_load_dwordx2 v[8:9], v[4:5], off glc
	s_waitcnt vmcnt(0)
	global_atomic_cmpswap_x2 v[4:5], v2, v[8:11], s[10:11] offset:24 glc
	s_waitcnt vmcnt(0)
	buffer_invl2
	buffer_wbinvl1_vol
	v_cmp_ne_u64_e32 vcc, v[4:5], v[10:11]
	s_and_saveexec_b64 s[14:15], vcc
	s_cbranch_execz .LBB14_371
; %bb.368:
	s_mov_b64 s[16:17], 0
.LBB14_369:                             ; =>This Inner Loop Header: Depth=1
	s_sleep 1
	global_load_dwordx2 v[8:9], v2, s[10:11] offset:40
	global_load_dwordx2 v[12:13], v2, s[10:11]
	v_pk_mov_b32 v[10:11], v[4:5], v[4:5] op_sel:[0,1]
	s_waitcnt vmcnt(1)
	v_and_b32_e32 v4, v8, v10
	s_waitcnt vmcnt(0)
	v_mad_u64_u32 v[4:5], s[18:19], v4, 24, v[12:13]
	v_and_b32_e32 v3, v9, v11
	v_mov_b32_e32 v8, v5
	v_mad_u64_u32 v[8:9], s[18:19], v3, 24, v[8:9]
	v_mov_b32_e32 v5, v8
	global_load_dwordx2 v[8:9], v[4:5], off glc
	s_waitcnt vmcnt(0)
	global_atomic_cmpswap_x2 v[4:5], v2, v[8:11], s[10:11] offset:24 glc
	s_waitcnt vmcnt(0)
	buffer_invl2
	buffer_wbinvl1_vol
	v_cmp_eq_u64_e32 vcc, v[4:5], v[10:11]
	s_or_b64 s[16:17], vcc, s[16:17]
	s_andn2_b64 exec, exec, s[16:17]
	s_cbranch_execnz .LBB14_369
; %bb.370:
	s_or_b64 exec, exec, s[16:17]
.LBB14_371:
	s_or_b64 exec, exec, s[14:15]
.LBB14_372:
	s_or_b64 exec, exec, s[12:13]
	s_waitcnt vmcnt(0)
	v_mov_b32_e32 v2, 0
	global_load_dwordx2 v[12:13], v2, s[10:11] offset:40
	global_load_dwordx4 v[8:11], v2, s[10:11]
	v_readfirstlane_b32 s12, v4
	v_readfirstlane_b32 s13, v5
	s_mov_b64 s[14:15], exec
	s_waitcnt vmcnt(1)
	v_readfirstlane_b32 s16, v12
	v_readfirstlane_b32 s17, v13
	s_and_b64 s[16:17], s[12:13], s[16:17]
	s_mul_i32 s18, s17, 24
	s_mul_hi_u32 s19, s16, 24
	s_mul_i32 s20, s16, 24
	s_add_i32 s18, s19, s18
	v_mov_b32_e32 v3, s18
	s_waitcnt vmcnt(0)
	v_add_co_u32_e32 v4, vcc, s20, v8
	v_addc_co_u32_e32 v5, vcc, v9, v3, vcc
	s_and_saveexec_b64 s[18:19], s[4:5]
	s_cbranch_execz .LBB14_374
; %bb.373:
	v_pk_mov_b32 v[12:13], s[14:15], s[14:15] op_sel:[0,1]
	v_mov_b32_e32 v14, 2
	v_mov_b32_e32 v15, 1
	global_store_dwordx4 v[4:5], v[12:15], off offset:8
.LBB14_374:
	s_or_b64 exec, exec, s[18:19]
	s_lshl_b64 s[14:15], s[16:17], 12
	v_mov_b32_e32 v3, s15
	v_add_co_u32_e32 v12, vcc, s14, v10
	v_addc_co_u32_e32 v13, vcc, v11, v3, vcc
	s_movk_i32 s14, 0xff1f
	s_mov_b32 s16, 0
	v_and_or_b32 v0, v0, s14, 32
	v_mov_b32_e32 v3, v2
	v_readfirstlane_b32 s14, v12
	v_readfirstlane_b32 s15, v13
	s_mov_b32 s17, s16
	v_add_co_u32_e32 v10, vcc, v12, v48
	s_mov_b32 s18, s16
	s_mov_b32 s19, s16
	s_nop 0
	global_store_dwordx4 v48, v[0:3], s[14:15]
	v_addc_co_u32_e32 v11, vcc, 0, v13, vcc
	v_pk_mov_b32 v[0:1], s[16:17], s[16:17] op_sel:[0,1]
	v_pk_mov_b32 v[2:3], s[18:19], s[18:19] op_sel:[0,1]
	global_store_dwordx4 v48, v[0:3], s[14:15] offset:16
	global_store_dwordx4 v48, v[0:3], s[14:15] offset:32
	global_store_dwordx4 v48, v[0:3], s[14:15] offset:48
	s_and_saveexec_b64 s[14:15], s[4:5]
	s_cbranch_execz .LBB14_382
; %bb.375:
	v_mov_b32_e32 v12, 0
	global_load_dwordx2 v[16:17], v12, s[10:11] offset:32 glc
	global_load_dwordx2 v[0:1], v12, s[10:11] offset:40
	v_mov_b32_e32 v14, s12
	v_mov_b32_e32 v15, s13
	s_waitcnt vmcnt(0)
	v_readfirstlane_b32 s16, v0
	v_readfirstlane_b32 s17, v1
	s_and_b64 s[16:17], s[16:17], s[12:13]
	s_mul_i32 s17, s17, 24
	s_mul_hi_u32 s18, s16, 24
	s_mul_i32 s16, s16, 24
	s_add_i32 s17, s18, s17
	v_mov_b32_e32 v0, s17
	v_add_co_u32_e32 v8, vcc, s16, v8
	v_addc_co_u32_e32 v9, vcc, v9, v0, vcc
	global_store_dwordx2 v[8:9], v[16:17], off
	buffer_wbl2
	s_waitcnt vmcnt(0)
	global_atomic_cmpswap_x2 v[2:3], v12, v[14:17], s[10:11] offset:32 glc
	s_waitcnt vmcnt(0)
	v_cmp_ne_u64_e32 vcc, v[2:3], v[16:17]
	s_and_saveexec_b64 s[16:17], vcc
	s_cbranch_execz .LBB14_378
; %bb.376:
	s_mov_b64 s[18:19], 0
.LBB14_377:                             ; =>This Inner Loop Header: Depth=1
	s_sleep 1
	global_store_dwordx2 v[8:9], v[2:3], off
	v_mov_b32_e32 v0, s12
	v_mov_b32_e32 v1, s13
	buffer_wbl2
	s_waitcnt vmcnt(0)
	global_atomic_cmpswap_x2 v[0:1], v12, v[0:3], s[10:11] offset:32 glc
	s_waitcnt vmcnt(0)
	v_cmp_eq_u64_e32 vcc, v[0:1], v[2:3]
	s_or_b64 s[18:19], vcc, s[18:19]
	v_pk_mov_b32 v[2:3], v[0:1], v[0:1] op_sel:[0,1]
	s_andn2_b64 exec, exec, s[18:19]
	s_cbranch_execnz .LBB14_377
.LBB14_378:
	s_or_b64 exec, exec, s[16:17]
	v_mov_b32_e32 v3, 0
	global_load_dwordx2 v[0:1], v3, s[10:11] offset:16
	s_mov_b64 s[16:17], exec
	v_mbcnt_lo_u32_b32 v2, s16, 0
	v_mbcnt_hi_u32_b32 v2, s17, v2
	v_cmp_eq_u32_e32 vcc, 0, v2
	s_and_saveexec_b64 s[18:19], vcc
	s_cbranch_execz .LBB14_380
; %bb.379:
	s_bcnt1_i32_b64 s16, s[16:17]
	v_mov_b32_e32 v2, s16
	buffer_wbl2
	s_waitcnt vmcnt(0)
	global_atomic_add_x2 v[0:1], v[2:3], off offset:8
.LBB14_380:
	s_or_b64 exec, exec, s[18:19]
	s_waitcnt vmcnt(0)
	global_load_dwordx2 v[2:3], v[0:1], off offset:16
	s_waitcnt vmcnt(0)
	v_cmp_eq_u64_e32 vcc, 0, v[2:3]
	s_cbranch_vccnz .LBB14_382
; %bb.381:
	global_load_dword v0, v[0:1], off offset:24
	v_mov_b32_e32 v1, 0
	buffer_wbl2
	s_waitcnt vmcnt(0)
	global_store_dwordx2 v[2:3], v[0:1], off
	v_and_b32_e32 v0, 0xffffff, v0
	v_readfirstlane_b32 m0, v0
	s_sendmsg sendmsg(MSG_INTERRUPT)
.LBB14_382:
	s_or_b64 exec, exec, s[14:15]
	s_branch .LBB14_386
.LBB14_383:                             ;   in Loop: Header=BB14_386 Depth=1
	s_or_b64 exec, exec, s[14:15]
	v_readfirstlane_b32 s14, v0
	s_cmp_eq_u32 s14, 0
	s_cbranch_scc1 .LBB14_385
; %bb.384:                              ;   in Loop: Header=BB14_386 Depth=1
	s_sleep 1
	s_cbranch_execnz .LBB14_386
	s_branch .LBB14_388
.LBB14_385:
	s_branch .LBB14_388
.LBB14_386:                             ; =>This Inner Loop Header: Depth=1
	v_mov_b32_e32 v0, 1
	s_and_saveexec_b64 s[14:15], s[4:5]
	s_cbranch_execz .LBB14_383
; %bb.387:                              ;   in Loop: Header=BB14_386 Depth=1
	global_load_dword v0, v[4:5], off offset:20 glc
	s_waitcnt vmcnt(0)
	buffer_invl2
	buffer_wbinvl1_vol
	v_and_b32_e32 v0, 1, v0
	s_branch .LBB14_383
.LBB14_388:
	global_load_dwordx2 v[0:1], v[10:11], off
	s_and_saveexec_b64 s[14:15], s[4:5]
	s_cbranch_execz .LBB14_391
; %bb.389:
	v_mov_b32_e32 v10, 0
	global_load_dwordx2 v[8:9], v10, s[10:11] offset:40
	global_load_dwordx2 v[12:13], v10, s[10:11] offset:24 glc
	global_load_dwordx2 v[14:15], v10, s[10:11]
	v_mov_b32_e32 v3, s13
	s_mov_b64 s[4:5], 0
	s_waitcnt vmcnt(2)
	v_add_co_u32_e32 v5, vcc, 1, v8
	v_addc_co_u32_e32 v11, vcc, 0, v9, vcc
	v_add_co_u32_e32 v2, vcc, s12, v5
	v_addc_co_u32_e32 v3, vcc, v11, v3, vcc
	v_cmp_eq_u64_e32 vcc, 0, v[2:3]
	v_cndmask_b32_e32 v3, v3, v11, vcc
	v_cndmask_b32_e32 v2, v2, v5, vcc
	v_and_b32_e32 v5, v3, v9
	v_and_b32_e32 v8, v2, v8
	v_mul_lo_u32 v5, v5, 24
	v_mul_hi_u32 v9, v8, 24
	v_mul_lo_u32 v8, v8, 24
	v_add_u32_e32 v5, v9, v5
	s_waitcnt vmcnt(0)
	v_add_co_u32_e32 v8, vcc, v14, v8
	v_addc_co_u32_e32 v9, vcc, v15, v5, vcc
	v_mov_b32_e32 v4, v12
	global_store_dwordx2 v[8:9], v[12:13], off
	v_mov_b32_e32 v5, v13
	buffer_wbl2
	s_waitcnt vmcnt(0)
	global_atomic_cmpswap_x2 v[4:5], v10, v[2:5], s[10:11] offset:24 glc
	s_waitcnt vmcnt(0)
	v_cmp_ne_u64_e32 vcc, v[4:5], v[12:13]
	s_and_b64 exec, exec, vcc
	s_cbranch_execz .LBB14_391
.LBB14_390:                             ; =>This Inner Loop Header: Depth=1
	s_sleep 1
	global_store_dwordx2 v[8:9], v[4:5], off
	buffer_wbl2
	s_waitcnt vmcnt(0)
	global_atomic_cmpswap_x2 v[12:13], v10, v[2:5], s[10:11] offset:24 glc
	s_waitcnt vmcnt(0)
	v_cmp_eq_u64_e32 vcc, v[12:13], v[4:5]
	s_or_b64 s[4:5], vcc, s[4:5]
	v_pk_mov_b32 v[4:5], v[12:13], v[12:13] op_sel:[0,1]
	s_andn2_b64 exec, exec, s[4:5]
	s_cbranch_execnz .LBB14_390
.LBB14_391:
	s_or_b64 exec, exec, s[14:15]
.LBB14_392:
	s_or_b64 exec, exec, s[6:7]
	s_mov_b64 s[4:5], 0
	s_waitcnt vmcnt(0)
	v_pk_mov_b32 v[2:3], v[6:7], v[6:7] op_sel:[0,1]
.LBB14_393:                             ; =>This Inner Loop Header: Depth=1
	flat_load_ubyte v8, v[2:3]
	v_add_co_u32_e32 v4, vcc, 1, v2
	v_addc_co_u32_e32 v5, vcc, 0, v3, vcc
	v_pk_mov_b32 v[2:3], v[4:5], v[4:5] op_sel:[0,1]
	s_waitcnt vmcnt(0) lgkmcnt(0)
	v_cmp_eq_u16_e32 vcc, 0, v8
	s_or_b64 s[4:5], vcc, s[4:5]
	s_andn2_b64 exec, exec, s[4:5]
	s_cbranch_execnz .LBB14_393
; %bb.394:
	s_or_b64 exec, exec, s[4:5]
	v_sub_u32_e32 v4, v4, v6
	v_ashrrev_i32_e32 v5, 31, v4
	v_mov_b32_e32 v2, v6
	v_mov_b32_e32 v3, v7
	;; [unrolled: 1-line block ×3, first 2 shown]
	s_getpc_b64 s[4:5]
	s_add_u32 s4, s4, __ockl_fprintf_append_string_n@rel32@lo+4
	s_addc_u32 s5, s5, __ockl_fprintf_append_string_n@rel32@hi+12
	s_swappc_b64 s[30:31], s[4:5]
	s_trap 2
.Lfunc_end14:
	.size	__assert_fail, .Lfunc_end14-__assert_fail
                                        ; -- End function
	.section	.AMDGPU.csdata,"",@progbits
; Function info:
; codeLenInByte = 15364
; NumSgprs: 38
; NumVgprs: 51
; NumAgprs: 0
; TotalNumVgprs: 51
; ScratchSize: 64
; MemoryBound: 0
	.section	.text._ZN9rocsolver6v33100L11stedcx_sortIffPfEEviPT0_lT1_iiliPiS6_,"axG",@progbits,_ZN9rocsolver6v33100L11stedcx_sortIffPfEEviPT0_lT1_iiliPiS6_,comdat
	.globl	_ZN9rocsolver6v33100L11stedcx_sortIffPfEEviPT0_lT1_iiliPiS6_ ; -- Begin function _ZN9rocsolver6v33100L11stedcx_sortIffPfEEviPT0_lT1_iiliPiS6_
	.p2align	8
	.type	_ZN9rocsolver6v33100L11stedcx_sortIffPfEEviPT0_lT1_iiliPiS6_,@function
_ZN9rocsolver6v33100L11stedcx_sortIffPfEEviPT0_lT1_iiliPiS6_: ; @_ZN9rocsolver6v33100L11stedcx_sortIffPfEEviPT0_lT1_iiliPiS6_
; %bb.0:
	s_load_dword s33, s[4:5], 0x30
	s_add_u32 flat_scratch_lo, s6, s10
	s_addc_u32 flat_scratch_hi, s7, 0
	s_add_u32 s0, s0, s10
	s_addc_u32 s1, s1, 0
	s_waitcnt lgkmcnt(0)
	s_cmp_ge_i32 s9, s33
	s_mov_b32 s32, 0
	s_cbranch_scc1 .LBB15_69
; %bb.1:
	s_load_dword s26, s[4:5], 0x0
	s_load_dwordx8 s[16:23], s[4:5], 0x8
	s_load_dwordx2 s[28:29], s[4:5], 0x28
	s_load_dwordx4 s[12:15], s[4:5], 0x38
	s_mov_b32 s24, s9
	s_waitcnt lgkmcnt(0)
	s_ashr_i32 s27, s26, 31
	s_add_u32 s36, s4, 0x48
	s_mul_hi_i32 s7, s26, s9
	s_mul_i32 s6, s26, s9
	s_addc_u32 s37, s5, 0
	s_lshl_b64 s[6:7], s[6:7], 2
	s_add_u32 s74, s12, s6
	s_addc_u32 s75, s13, s7
	s_cmp_lg_u64 s[20:21], 0
	s_cselect_b64 s[8:9], -1, 0
	s_ashr_i32 s7, s22, 31
	s_mov_b32 s6, s22
	s_lshl_b64 s[6:7], s[6:7], 2
	s_add_u32 s76, s20, s6
	s_addc_u32 s77, s21, s7
	v_cmp_gt_i64_e64 s[34:35], s[26:27], 0
	s_load_dword s27, s[4:5], 0x50
	s_cmp_lg_u64 s[14:15], 0
	s_cselect_b64 s[20:21], -1, 0
	s_cmp_eq_u64 s[16:17], 0
	v_and_b32_e32 v2, 0x3ff, v0
	v_bfe_u32 v3, v0, 10, 10
	v_bfe_u32 v4, v0, 20, 10
	s_cselect_b64 s[38:39], -1, 0
	v_or3_b32 v0, v3, v4, v2
	s_cmp_lg_u64 s[12:13], 0
	v_cmp_eq_u32_e64 s[6:7], 0, v0
	s_cselect_b64 s[42:43], -1, 0
	s_cmp_gt_i32 s23, 0
	v_cndmask_b32_e64 v0, 0, 1, s[8:9]
	s_mov_b64 s[30:31], 0
	s_mov_b32 s41, 0
	s_cselect_b64 s[44:45], -1, 0
	s_mov_b32 s78, s23
	v_mov_b32_e32 v1, 0
	v_cndmask_b32_e64 v5, 0, 1, s[42:43]
	v_cmp_ne_u32_e64 s[8:9], 1, v0
                                        ; implicit-def: $sgpr46_sgpr47
                                        ; implicit-def: $sgpr22_sgpr23
                                        ; implicit-def: $sgpr48_sgpr49
                                        ; implicit-def: $sgpr50_sgpr51
	s_branch .LBB15_4
.LBB15_2:                               ;   in Loop: Header=BB15_4 Depth=1
	s_or_b64 exec, exec, s[52:53]
	s_andn2_b64 s[10:11], s[50:51], exec
	s_and_b64 s[50:51], s[58:59], exec
	s_or_b64 s[50:51], s[10:11], s[50:51]
	s_andn2_b64 s[10:11], s[48:49], exec
	s_and_b64 s[12:13], s[12:13], exec
	s_or_b64 s[48:49], s[10:11], s[12:13]
	s_orn2_b64 s[12:13], s[56:57], exec
.LBB15_3:                               ;   in Loop: Header=BB15_4 Depth=1
	s_or_b64 exec, exec, s[54:55]
	s_and_b64 s[10:11], exec, s[12:13]
	s_or_b64 s[30:31], s[10:11], s[30:31]
	s_andn2_b64 s[10:11], s[22:23], exec
	s_and_b64 s[12:13], s[50:51], exec
	s_or_b64 s[22:23], s[10:11], s[12:13]
	s_andn2_b64 s[10:11], s[46:47], exec
	s_and_b64 s[12:13], s[48:49], exec
	s_or_b64 s[46:47], s[10:11], s[12:13]
	s_andn2_b64 exec, exec, s[30:31]
	s_cbranch_execz .LBB15_65
.LBB15_4:                               ; =>This Loop Header: Depth=1
                                        ;     Child Loop BB15_11 Depth 2
                                        ;     Child Loop BB15_15 Depth 2
                                        ;       Child Loop BB15_18 Depth 3
                                        ;         Child Loop BB15_22 Depth 4
                                        ;     Child Loop BB15_32 Depth 2
                                        ;     Child Loop BB15_46 Depth 2
                                        ;       Child Loop BB15_48 Depth 3
                                        ;         Child Loop BB15_53 Depth 4
                                        ;     Child Loop BB15_57 Depth 2
	s_ashr_i32 s25, s24, 31
	s_and_b64 vcc, exec, s[8:9]
	s_mov_b64 s[52:53], 0
	s_cbranch_vccnz .LBB15_6
; %bb.5:                                ;   in Loop: Header=BB15_4 Depth=1
	s_mul_i32 s10, s24, s29
	s_mul_hi_u32 s11, s24, s28
	s_add_i32 s10, s11, s10
	s_mul_i32 s11, s25, s28
	s_add_i32 s11, s10, s11
	s_mul_i32 s10, s24, s28
	s_lshl_b64 s[10:11], s[10:11], 2
	s_add_u32 s52, s76, s10
	s_addc_u32 s53, s77, s11
.LBB15_6:                               ;   in Loop: Header=BB15_4 Depth=1
	s_andn2_b64 vcc, exec, s[20:21]
	s_mov_b32 s79, s26
	s_cbranch_vccnz .LBB15_8
; %bb.7:                                ;   in Loop: Header=BB15_4 Depth=1
	s_lshl_b64 s[10:11], s[24:25], 2
	s_add_u32 s10, s14, s10
	s_addc_u32 s11, s15, s11
	global_load_dword v0, v1, s[10:11]
	s_waitcnt vmcnt(0)
	v_readfirstlane_b32 s79, v0
.LBB15_8:                               ;   in Loop: Header=BB15_4 Depth=1
	s_cmp_lt_i32 s79, 1
	s_cselect_b64 s[10:11], -1, 0
	s_or_b64 s[10:11], s[38:39], s[10:11]
	s_mov_b64 s[12:13], -1
	s_and_b64 vcc, exec, s[10:11]
	s_mov_b64 s[58:59], -1
	s_waitcnt lgkmcnt(0)
	s_barrier
	s_waitcnt lgkmcnt(0)
                                        ; implicit-def: $sgpr10_sgpr11
                                        ; implicit-def: $sgpr56_sgpr57
	s_cbranch_vccnz .LBB15_41
; %bb.9:                                ;   in Loop: Header=BB15_4 Depth=1
	s_load_dwordx2 s[10:11], s[36:37], 0xc
	s_waitcnt lgkmcnt(0)
	s_barrier
	s_lshr_b32 s40, s10, 16
	s_and_b32 s10, s10, 0xffff
	s_mul_i32 s80, s40, s10
	v_mul_u32_u24_e32 v0, s10, v3
	v_mul_lo_u32 v6, s80, v4
	v_add3_u32 v6, v0, v2, v6
	s_and_b32 s11, s11, 0xffff
	v_cmp_gt_u32_e32 vcc, s79, v6
	s_mul_i32 s80, s80, s11
	s_and_b64 s[54:55], s[42:43], vcc
	s_and_saveexec_b64 s[10:11], s[54:55]
	s_cbranch_execz .LBB15_12
; %bb.10:                               ;   in Loop: Header=BB15_4 Depth=1
	s_mov_b64 s[54:55], 0
	v_mov_b32_e32 v0, v6
.LBB15_11:                              ;   Parent Loop BB15_4 Depth=1
                                        ; =>  This Inner Loop Header: Depth=2
	v_lshlrev_b64 v[8:9], 2, v[0:1]
	v_mov_b32_e32 v7, s75
	v_add_co_u32_e32 v8, vcc, s74, v8
	v_addc_co_u32_e32 v9, vcc, v7, v9, vcc
	global_store_dword v[8:9], v0, off
	v_add_u32_e32 v0, s80, v0
	v_cmp_le_u32_e32 vcc, s79, v0
	s_or_b64 s[54:55], vcc, s[54:55]
	s_andn2_b64 exec, exec, s[54:55]
	s_cbranch_execnz .LBB15_11
.LBB15_12:                              ;   in Loop: Header=BB15_4 Depth=1
	s_or_b64 exec, exec, s[10:11]
	s_mul_i32 s10, s24, s19
	s_mul_hi_u32 s11, s24, s18
	s_add_i32 s10, s11, s10
	s_mul_i32 s11, s25, s18
	s_add_i32 s11, s10, s11
	s_mul_i32 s10, s24, s18
	s_lshl_b64 s[10:11], s[10:11], 2
	s_add_u32 s25, s16, s10
	s_addc_u32 s64, s17, s11
	s_barrier
	s_and_saveexec_b64 s[54:55], s[6:7]
	s_cbranch_execz .LBB15_28
; %bb.13:                               ;   in Loop: Header=BB15_4 Depth=1
	s_mov_b32 s40, 0
	s_branch .LBB15_15
.LBB15_14:                              ;   in Loop: Header=BB15_15 Depth=2
	s_add_i32 s40, s40, 1
	s_cmp_eq_u32 s40, 8
	s_cbranch_scc1 .LBB15_28
.LBB15_15:                              ;   Parent Loop BB15_4 Depth=1
                                        ; =>  This Loop Header: Depth=2
                                        ;       Child Loop BB15_18 Depth 3
                                        ;         Child Loop BB15_22 Depth 4
	s_lshl_b64 s[10:11], s[40:41], 2
	s_getpc_b64 s[56:57]
	s_add_u32 s56, s56, __const._ZN9rocsolver6v33100L20shell_sort_ascendingIfiEEvT0_PT_PS2_.gaps@rel32@lo+4
	s_addc_u32 s57, s57, __const._ZN9rocsolver6v33100L20shell_sort_ascendingIfiEEvT0_PT_PS2_.gaps@rel32@hi+12
	s_add_u32 s10, s10, s56
	s_addc_u32 s11, s11, s57
	s_load_dword s65, s[10:11], 0x0
	s_waitcnt lgkmcnt(0)
	s_cmp_ge_i32 s65, s79
	s_cbranch_scc1 .LBB15_14
; %bb.16:                               ;   in Loop: Header=BB15_15 Depth=2
	s_mov_b32 s66, 0
	s_mov_b32 s56, s65
	s_branch .LBB15_18
.LBB15_17:                              ;   in Loop: Header=BB15_18 Depth=3
	s_add_i32 s56, s56, 1
	s_add_i32 s66, s66, 1
	s_cmp_ge_i32 s56, s79
	s_cbranch_scc1 .LBB15_14
.LBB15_18:                              ;   Parent Loop BB15_4 Depth=1
                                        ;     Parent Loop BB15_15 Depth=2
                                        ; =>    This Loop Header: Depth=3
                                        ;         Child Loop BB15_22 Depth 4
	s_ashr_i32 s57, s56, 31
	s_lshl_b64 s[58:59], s[56:57], 2
	s_add_u32 s10, s25, s58
	s_addc_u32 s11, s64, s59
	global_load_dword v0, v1, s[10:11]
	v_cmp_ne_u32_e64 s[10:11], 1, v5
	s_andn2_b64 vcc, exec, s[42:43]
	s_cbranch_vccnz .LBB15_20
; %bb.19:                               ;   in Loop: Header=BB15_18 Depth=3
	s_add_u32 s58, s74, s58
	s_addc_u32 s59, s75, s59
	global_load_dword v7, v1, s[58:59]
	s_cmp_lt_i32 s56, s65
	s_mov_b64 s[60:61], s[56:57]
	s_mov_b32 s58, s66
	s_cbranch_scc0 .LBB15_22
	s_branch .LBB15_26
.LBB15_20:                              ;   in Loop: Header=BB15_18 Depth=3
	v_mov_b32_e32 v7, 0
	s_cmp_lt_i32 s56, s65
	s_mov_b64 s[60:61], s[56:57]
	s_mov_b32 s58, s66
	s_cbranch_scc0 .LBB15_22
	s_branch .LBB15_26
.LBB15_21:                              ;   in Loop: Header=BB15_22 Depth=4
                                        ; implicit-def: $sgpr58
	s_cbranch_execnz .LBB15_26
.LBB15_22:                              ;   Parent Loop BB15_4 Depth=1
                                        ;     Parent Loop BB15_15 Depth=2
                                        ;       Parent Loop BB15_18 Depth=3
                                        ; =>      This Inner Loop Header: Depth=4
	s_ashr_i32 s59, s58, 31
	s_add_i32 s60, s65, s58
	s_lshl_b64 s[62:63], s[58:59], 2
	s_add_u32 s68, s25, s62
	s_addc_u32 s69, s64, s63
	global_load_dword v8, v1, s[68:69]
	s_ashr_i32 s61, s60, 31
	s_waitcnt vmcnt(0)
	v_cmp_ngt_f32_e32 vcc, v8, v0
	s_cbranch_vccnz .LBB15_21
; %bb.23:                               ;   in Loop: Header=BB15_22 Depth=4
	s_lshl_b64 s[60:61], s[60:61], 2
	s_add_u32 s68, s25, s60
	s_addc_u32 s69, s64, s61
	s_and_b64 vcc, exec, s[10:11]
	global_store_dword v1, v8, s[68:69]
	s_cbranch_vccnz .LBB15_25
; %bb.24:                               ;   in Loop: Header=BB15_22 Depth=4
	s_add_u32 s60, s74, s60
	s_addc_u32 s61, s75, s61
	s_add_u32 s62, s74, s62
	s_addc_u32 s63, s75, s63
	global_load_dword v8, v1, s[62:63]
	s_waitcnt vmcnt(0)
	global_store_dword v1, v8, s[60:61]
.LBB15_25:                              ;   in Loop: Header=BB15_22 Depth=4
	s_sub_i32 s57, s58, s65
	s_cmp_lt_i32 s58, s65
	s_cselect_b64 s[62:63], -1, 0
	s_mov_b64 s[60:61], s[58:59]
	s_mov_b32 s58, s57
	s_and_b64 vcc, exec, s[62:63]
	s_cbranch_vccz .LBB15_22
.LBB15_26:                              ;   in Loop: Header=BB15_18 Depth=3
	s_lshl_b64 s[58:59], s[60:61], 2
	s_add_u32 s60, s25, s58
	s_addc_u32 s61, s64, s59
	s_and_b64 vcc, exec, s[10:11]
	s_waitcnt vmcnt(0)
	global_store_dword v1, v0, s[60:61]
	s_cbranch_vccnz .LBB15_17
; %bb.27:                               ;   in Loop: Header=BB15_18 Depth=3
	s_add_u32 s10, s74, s58
	s_addc_u32 s11, s75, s59
	global_store_dword v1, v7, s[10:11]
	s_branch .LBB15_17
.LBB15_28:                              ;   in Loop: Header=BB15_4 Depth=1
	s_or_b64 exec, exec, s[54:55]
	s_cmp_lt_i32 s79, 2
	s_cselect_b64 s[60:61], -1, 0
	s_and_b64 vcc, exec, s[60:61]
	s_barrier
	s_cbranch_vccnz .LBB15_36
; %bb.29:                               ;   in Loop: Header=BB15_4 Depth=1
	s_add_i32 s40, s79, -1
	v_cmp_gt_u32_e32 vcc, s40, v6
	s_mov_b64 s[60:61], -1
                                        ; implicit-def: $sgpr10_sgpr11
                                        ; implicit-def: $sgpr56_sgpr57
	s_and_saveexec_b64 s[54:55], vcc
	s_cbranch_execz .LBB15_38
; %bb.30:                               ;   in Loop: Header=BB15_4 Depth=1
	s_add_u32 s81, s25, 4
	s_addc_u32 s82, s64, 0
	s_mov_b64 s[56:57], 0
	v_mov_b32_e32 v7, s64
	v_mov_b32_e32 v0, v6
                                        ; implicit-def: $sgpr62_sgpr63
                                        ; implicit-def: $sgpr60_sgpr61
                                        ; implicit-def: $sgpr58_sgpr59
	s_branch .LBB15_32
.LBB15_31:                              ;   in Loop: Header=BB15_32 Depth=2
	s_or_b64 exec, exec, s[72:73]
	s_xor_b64 s[68:69], s[70:71], -1
	s_and_b64 s[10:11], exec, s[10:11]
	s_or_b64 s[56:57], s[10:11], s[56:57]
	s_andn2_b64 s[10:11], s[58:59], exec
	s_and_b64 s[58:59], s[68:69], exec
	s_or_b64 s[58:59], s[10:11], s[58:59]
	s_andn2_b64 s[10:11], s[60:61], exec
	s_and_b64 s[60:61], s[66:67], exec
	s_or_b64 s[60:61], s[10:11], s[60:61]
	s_andn2_b64 s[10:11], s[62:63], exec
	s_and_b64 s[62:63], s[64:65], exec
	s_or_b64 s[62:63], s[10:11], s[62:63]
	s_andn2_b64 exec, exec, s[56:57]
	s_cbranch_execz .LBB15_37
.LBB15_32:                              ;   Parent Loop BB15_4 Depth=1
                                        ; =>  This Inner Loop Header: Depth=2
	v_lshlrev_b64 v[8:9], 2, v[0:1]
	v_add_co_u32_e32 v8, vcc, s25, v8
	v_addc_co_u32_e32 v9, vcc, v7, v9, vcc
	global_load_dword v6, v[8:9], off
                                        ; implicit-def: $sgpr66_sgpr67
                                        ; implicit-def: $sgpr64_sgpr65
	s_waitcnt vmcnt(0)
	v_cmp_u_f32_e64 s[68:69], v6, v6
	v_cmp_o_f32_e32 vcc, v6, v6
	s_and_saveexec_b64 s[70:71], vcc
	s_cbranch_execz .LBB15_34
; %bb.33:                               ;   in Loop: Header=BB15_32 Depth=2
	v_ashrrev_i32_e32 v9, 31, v0
	v_mov_b32_e32 v8, v0
	v_lshlrev_b64 v[8:9], 2, v[8:9]
	v_mov_b32_e32 v10, s82
	v_add_co_u32_e32 v8, vcc, s81, v8
	v_addc_co_u32_e32 v9, vcc, v10, v9, vcc
	global_load_dword v8, v[8:9], off
	s_andn2_b64 s[68:69], s[68:69], exec
	s_mov_b64 s[64:65], 0
	s_mov_b64 s[66:67], -1
	s_waitcnt vmcnt(0)
	v_cmp_u_f32_e32 vcc, v8, v8
	v_cmp_le_f32_e64 s[10:11], v6, v8
	s_or_b64 s[10:11], vcc, s[10:11]
	s_and_b64 s[10:11], s[10:11], exec
	s_or_b64 s[68:69], s[68:69], s[10:11]
.LBB15_34:                              ;   in Loop: Header=BB15_32 Depth=2
	s_or_b64 exec, exec, s[70:71]
	s_mov_b64 s[10:11], -1
	s_mov_b64 s[70:71], s[66:67]
	s_and_saveexec_b64 s[72:73], s[68:69]
	s_cbranch_execz .LBB15_31
; %bb.35:                               ;   in Loop: Header=BB15_32 Depth=2
	v_add_u32_e32 v0, s80, v0
	v_cmp_le_u32_e32 vcc, s40, v0
	s_andn2_b64 s[70:71], s[66:67], exec
	s_orn2_b64 s[10:11], vcc, exec
	s_branch .LBB15_31
.LBB15_36:                              ;   in Loop: Header=BB15_4 Depth=1
                                        ; implicit-def: $sgpr10_sgpr11
                                        ; implicit-def: $sgpr56_sgpr57
	s_mov_b64 s[58:59], 0
	s_and_saveexec_b64 s[54:55], s[60:61]
	s_cbranch_execnz .LBB15_39
	s_branch .LBB15_40
.LBB15_37:                              ;   in Loop: Header=BB15_4 Depth=1
	s_or_b64 exec, exec, s[56:57]
	s_and_b64 s[56:57], s[62:63], exec
	s_and_b64 s[10:11], s[60:61], exec
	s_orn2_b64 s[60:61], s[58:59], exec
.LBB15_38:                              ;   in Loop: Header=BB15_4 Depth=1
	s_or_b64 exec, exec, s[54:55]
	s_mov_b64 s[58:59], 0
	s_and_saveexec_b64 s[54:55], s[60:61]
	s_cbranch_execz .LBB15_40
.LBB15_39:                              ;   in Loop: Header=BB15_4 Depth=1
	s_mov_b64 s[58:59], exec
	s_andn2_b64 s[56:57], s[56:57], exec
	s_andn2_b64 s[10:11], s[10:11], exec
	s_barrier
.LBB15_40:                              ;   in Loop: Header=BB15_4 Depth=1
	s_or_b64 exec, exec, s[54:55]
.LBB15_41:                              ;   in Loop: Header=BB15_4 Depth=1
	s_andn2_b64 s[50:51], s[50:51], exec
	s_and_b64 s[54:55], s[56:57], exec
	s_andn2_b64 s[48:49], s[48:49], exec
	s_and_b64 s[10:11], s[10:11], exec
	s_or_b64 s[50:51], s[50:51], s[54:55]
	s_or_b64 s[48:49], s[48:49], s[10:11]
	s_and_saveexec_b64 s[54:55], s[58:59]
	s_cbranch_execz .LBB15_3
; %bb.42:                               ;   in Loop: Header=BB15_4 Depth=1
	s_cmp_lg_u64 s[52:53], 0
	s_cselect_b64 s[10:11], -1, 0
	s_and_b64 s[10:11], s[34:35], s[10:11]
	s_and_b64 s[10:11], s[44:45], s[10:11]
	;; [unrolled: 1-line block ×3, first 2 shown]
	s_mov_b64 s[56:57], -1
	s_and_b64 vcc, exec, s[10:11]
	s_mov_b64 s[10:11], -1
	s_barrier
	s_waitcnt lgkmcnt(0)
                                        ; implicit-def: $sgpr58_sgpr59
                                        ; implicit-def: $sgpr12_sgpr13
	s_cbranch_vccz .LBB15_63
; %bb.43:                               ;   in Loop: Header=BB15_4 Depth=1
	s_load_dwordx2 s[10:11], s[36:37], 0xc
	s_waitcnt lgkmcnt(0)
	s_and_b32 s11, s11, 0xffff
	s_lshr_b32 s12, s10, 16
	s_and_b32 s10, s10, 0xffff
	s_mul_i32 s66, s12, s10
	s_cmp_lt_i32 s79, 0
	v_mul_u32_u24_e32 v0, s10, v3
	v_mul_lo_u32 v6, s66, v4
	s_cselect_b32 s25, s26, s79
	v_add3_u32 v6, v0, v2, v6
	s_cmp_eq_u32 s25, 0
	s_mul_i32 s66, s66, s11
	s_cbranch_scc1 .LBB15_54
; %bb.44:                               ;   in Loop: Header=BB15_4 Depth=1
	s_mov_b32 s40, 0
	v_cmp_eq_u32_e64 s[10:11], 0, v6
	v_cmp_gt_u32_e64 s[12:13], s26, v6
	s_branch .LBB15_46
.LBB15_45:                              ;   in Loop: Header=BB15_46 Depth=2
	s_add_i32 s40, s40, 1
	s_cmp_eq_u32 s40, s25
	s_cbranch_scc1 .LBB15_54
.LBB15_46:                              ;   Parent Loop BB15_4 Depth=1
                                        ; =>  This Loop Header: Depth=2
                                        ;       Child Loop BB15_48 Depth 3
                                        ;         Child Loop BB15_53 Depth 4
	s_lshl_b64 s[58:59], s[40:41], 2
	s_add_u32 s58, s74, s58
	s_addc_u32 s59, s75, s59
	s_barrier
	s_branch .LBB15_48
.LBB15_47:                              ;   in Loop: Header=BB15_48 Depth=3
	s_or_b64 exec, exec, s[60:61]
	s_waitcnt lgkmcnt(0)
	s_barrier
.LBB15_48:                              ;   Parent Loop BB15_4 Depth=1
                                        ;     Parent Loop BB15_46 Depth=2
                                        ; =>    This Loop Header: Depth=3
                                        ;         Child Loop BB15_53 Depth 4
	global_load_dword v0, v1, s[58:59]
	s_waitcnt vmcnt(0)
	v_cmp_eq_u32_e32 vcc, s40, v0
	v_readfirstlane_b32 s62, v0
	s_cbranch_vccnz .LBB15_45
; %bb.49:                               ;   in Loop: Header=BB15_48 Depth=3
	s_ashr_i32 s63, s62, 31
	s_lshl_b64 s[60:61], s[62:63], 2
	s_add_u32 s60, s74, s60
	s_addc_u32 s61, s75, s61
	global_load_dword v0, v1, s[60:61]
	s_barrier
	s_waitcnt vmcnt(0)
	v_readfirstlane_b32 s67, v0
	s_and_saveexec_b64 s[64:65], s[10:11]
	s_cbranch_execz .LBB15_51
; %bb.50:                               ;   in Loop: Header=BB15_48 Depth=3
	v_mov_b32_e32 v0, s62
	global_store_dword v1, v0, s[60:61]
	v_mov_b32_e32 v0, s67
	global_store_dword v1, v0, s[58:59]
.LBB15_51:                              ;   in Loop: Header=BB15_48 Depth=3
	s_or_b64 exec, exec, s[64:65]
	s_barrier
	s_and_saveexec_b64 s[60:61], s[12:13]
	s_cbranch_execz .LBB15_47
; %bb.52:                               ;   in Loop: Header=BB15_48 Depth=3
	s_mul_i32 s63, s63, s78
	s_mul_hi_u32 s64, s62, s78
	s_add_i32 s63, s64, s63
	s_ashr_i32 s64, s67, 31
	s_mul_i32 s62, s62, s78
	s_mul_hi_u32 s65, s67, s78
	s_mul_i32 s64, s64, s78
	s_add_i32 s69, s65, s64
	s_lshl_b64 s[62:63], s[62:63], 2
	s_mul_i32 s68, s67, s78
	s_add_u32 s64, s52, s62
	s_addc_u32 s67, s53, s63
	s_lshl_b64 s[62:63], s[68:69], 2
	s_add_u32 s65, s52, s62
	s_addc_u32 s68, s53, s63
	s_mov_b64 s[62:63], 0
	v_mov_b32_e32 v7, s67
	v_mov_b32_e32 v8, s68
	;; [unrolled: 1-line block ×3, first 2 shown]
.LBB15_53:                              ;   Parent Loop BB15_4 Depth=1
                                        ;     Parent Loop BB15_46 Depth=2
                                        ;       Parent Loop BB15_48 Depth=3
                                        ; =>      This Inner Loop Header: Depth=4
	v_lshlrev_b64 v[10:11], 2, v[0:1]
	v_add_co_u32_e32 v12, vcc, s64, v10
	v_addc_co_u32_e32 v13, vcc, v7, v11, vcc
	v_add_co_u32_e32 v10, vcc, s65, v10
	v_addc_co_u32_e32 v11, vcc, v8, v11, vcc
	flat_load_dword v9, v[10:11]
	flat_load_dword v14, v[12:13]
	v_add_u32_e32 v0, s66, v0
	v_cmp_le_u32_e32 vcc, s26, v0
	s_or_b64 s[62:63], vcc, s[62:63]
	s_waitcnt vmcnt(0) lgkmcnt(0)
	flat_store_dword v[12:13], v9
	flat_store_dword v[10:11], v14
	s_andn2_b64 exec, exec, s[62:63]
	s_cbranch_execnz .LBB15_53
	s_branch .LBB15_47
.LBB15_54:                              ;   in Loop: Header=BB15_4 Depth=1
	v_cmp_gt_u32_e32 vcc, s25, v6
	s_mov_b64 s[52:53], -1
	s_barrier
	s_waitcnt lgkmcnt(0)
                                        ; implicit-def: $sgpr58_sgpr59
                                        ; implicit-def: $sgpr12_sgpr13
	s_and_saveexec_b64 s[10:11], vcc
	s_cbranch_execz .LBB15_60
; %bb.55:                               ;   in Loop: Header=BB15_4 Depth=1
	s_mov_b64 s[12:13], 0
	v_mov_b32_e32 v0, v6
                                        ; implicit-def: $sgpr52_sgpr53
                                        ; implicit-def: $sgpr60_sgpr61
                                        ; implicit-def: $sgpr58_sgpr59
	s_branch .LBB15_57
.LBB15_56:                              ;   in Loop: Header=BB15_57 Depth=2
	s_or_b64 exec, exec, s[62:63]
	s_xor_b64 s[62:63], s[58:59], -1
	s_and_b64 s[64:65], exec, s[60:61]
	s_or_b64 s[12:13], s[64:65], s[12:13]
	s_andn2_b64 s[52:53], s[52:53], exec
	s_and_b64 s[62:63], s[62:63], exec
	s_or_b64 s[52:53], s[52:53], s[62:63]
	s_andn2_b64 exec, exec, s[12:13]
	s_cbranch_execz .LBB15_59
.LBB15_57:                              ;   Parent Loop BB15_4 Depth=1
                                        ; =>  This Inner Loop Header: Depth=2
	v_lshlrev_b64 v[6:7], 2, v[0:1]
	v_mov_b32_e32 v8, s75
	v_add_co_u32_e32 v6, vcc, s74, v6
	v_addc_co_u32_e32 v7, vcc, v8, v7, vcc
	global_load_dword v6, v[6:7], off
	s_or_b64 s[58:59], s[58:59], exec
	s_or_b64 s[60:61], s[60:61], exec
	s_waitcnt vmcnt(0)
	v_cmp_eq_u32_e32 vcc, v0, v6
	s_and_saveexec_b64 s[62:63], vcc
	s_cbranch_execz .LBB15_56
; %bb.58:                               ;   in Loop: Header=BB15_57 Depth=2
	v_add_u32_e32 v0, s66, v0
	v_cmp_le_u32_e32 vcc, s25, v0
	s_andn2_b64 s[60:61], s[60:61], exec
	s_and_b64 s[64:65], vcc, exec
	s_andn2_b64 s[58:59], s[58:59], exec
	s_or_b64 s[60:61], s[60:61], s[64:65]
	s_branch .LBB15_56
.LBB15_59:                              ;   in Loop: Header=BB15_4 Depth=1
	s_or_b64 exec, exec, s[12:13]
	s_mov_b64 s[12:13], 0
	s_mov_b64 s[58:59], -1
	s_orn2_b64 s[52:53], s[52:53], exec
.LBB15_60:                              ;   in Loop: Header=BB15_4 Depth=1
	s_or_b64 exec, exec, s[10:11]
	s_mov_b64 s[10:11], 0
	s_and_saveexec_b64 s[60:61], s[52:53]
	s_cbranch_execz .LBB15_62
; %bb.61:                               ;   in Loop: Header=BB15_4 Depth=1
	s_mov_b64 s[10:11], exec
	s_barrier
	s_waitcnt lgkmcnt(0)
                                        ; implicit-def: $sgpr58_sgpr59
                                        ; implicit-def: $sgpr12_sgpr13
.LBB15_62:                              ;   in Loop: Header=BB15_4 Depth=1
	s_or_b64 exec, exec, s[60:61]
.LBB15_63:                              ;   in Loop: Header=BB15_4 Depth=1
	s_and_saveexec_b64 s[52:53], s[10:11]
	s_cbranch_execz .LBB15_2
; %bb.64:                               ;   in Loop: Header=BB15_4 Depth=1
	s_add_i32 s24, s24, s27
	s_cmp_ge_i32 s24, s33
	s_cselect_b64 s[10:11], -1, 0
	s_andn2_b64 s[58:59], s[58:59], exec
	s_andn2_b64 s[12:13], s[12:13], exec
	s_orn2_b64 s[56:57], s[10:11], exec
	s_barrier
	s_branch .LBB15_2
.LBB15_65:
	s_or_b64 exec, exec, s[30:31]
	s_xor_b64 s[6:7], s[46:47], -1
	s_mov_b64 s[26:27], 0
	s_and_saveexec_b64 s[8:9], s[6:7]
	s_xor_b64 s[28:29], exec, s[8:9]
	s_cbranch_execnz .LBB15_70
; %bb.66:
	s_andn2_saveexec_b64 s[28:29], s[28:29]
	s_cbranch_execnz .LBB15_73
.LBB15_67:
	s_or_b64 exec, exec, s[28:29]
	s_and_saveexec_b64 s[4:5], s[26:27]
.LBB15_68:
	; divergent unreachable
.LBB15_69:
	s_endpgm
.LBB15_70:
	s_mov_b64 s[6:7], 0
	s_and_saveexec_b64 s[8:9], s[22:23]
	s_xor_b64 s[26:27], exec, s[8:9]
	s_cbranch_execz .LBB15_72
; %bb.71:
	s_add_u32 s8, s4, 0x48
	s_addc_u32 s9, s5, 0
	s_getpc_b64 s[6:7]
	s_add_u32 s6, s6, .str.6@rel32@lo+4
	s_addc_u32 s7, s7, .str.6@rel32@hi+12
	s_getpc_b64 s[10:11]
	s_add_u32 s10, s10, __PRETTY_FUNCTION__._ZN9rocsolver6v33100L12permute_swapIfiEEvT0_PT_S2_PS2_S2_@rel32@lo+4
	s_addc_u32 s11, s11, __PRETTY_FUNCTION__._ZN9rocsolver6v33100L12permute_swapIfiEEvT0_PT_S2_PS2_S2_@rel32@hi+12
	v_mov_b32_e32 v0, s6
	v_mov_b32_e32 v1, s7
	;; [unrolled: 1-line block ×5, first 2 shown]
	s_getpc_b64 s[12:13]
	s_add_u32 s12, s12, __assert_fail@rel32@lo+4
	s_addc_u32 s13, s13, __assert_fail@rel32@hi+12
	s_mov_b64 s[34:35], s[4:5]
	s_swappc_b64 s[30:31], s[12:13]
	s_mov_b64 s[4:5], s[34:35]
	s_mov_b64 s[6:7], exec
.LBB15_72:
	s_or_b64 exec, exec, s[26:27]
	s_and_b64 s[26:27], s[6:7], exec
	s_andn2_saveexec_b64 s[28:29], s[28:29]
	s_cbranch_execz .LBB15_67
.LBB15_73:
	s_add_u32 s8, s4, 0x48
	s_addc_u32 s9, s5, 0
	s_getpc_b64 s[4:5]
	s_add_u32 s4, s4, .str.3@rel32@lo+4
	s_addc_u32 s5, s5, .str.3@rel32@hi+12
	s_getpc_b64 s[6:7]
	s_add_u32 s6, s6, __PRETTY_FUNCTION__._ZN9rocsolver6v33100L20shell_sort_ascendingIfiEEvT0_PT_PS2_@rel32@lo+4
	s_addc_u32 s7, s7, __PRETTY_FUNCTION__._ZN9rocsolver6v33100L20shell_sort_ascendingIfiEEvT0_PT_PS2_@rel32@hi+12
	v_mov_b32_e32 v0, s4
	v_mov_b32_e32 v1, s5
	;; [unrolled: 1-line block ×5, first 2 shown]
	s_getpc_b64 s[10:11]
	s_add_u32 s10, s10, __assert_fail@rel32@lo+4
	s_addc_u32 s11, s11, __assert_fail@rel32@hi+12
	s_swappc_b64 s[30:31], s[10:11]
	s_or_b64 s[26:27], s[26:27], exec
	s_or_b64 exec, exec, s[28:29]
	s_and_saveexec_b64 s[4:5], s[26:27]
	s_cbranch_execnz .LBB15_68
	s_branch .LBB15_69
	.section	.rodata,"a",@progbits
	.p2align	6, 0x0
	.amdhsa_kernel _ZN9rocsolver6v33100L11stedcx_sortIffPfEEviPT0_lT1_iiliPiS6_
		.amdhsa_group_segment_fixed_size 0
		.amdhsa_private_segment_fixed_size 64
		.amdhsa_kernarg_size 328
		.amdhsa_user_sgpr_count 8
		.amdhsa_user_sgpr_private_segment_buffer 1
		.amdhsa_user_sgpr_dispatch_ptr 0
		.amdhsa_user_sgpr_queue_ptr 0
		.amdhsa_user_sgpr_kernarg_segment_ptr 1
		.amdhsa_user_sgpr_dispatch_id 0
		.amdhsa_user_sgpr_flat_scratch_init 1
		.amdhsa_user_sgpr_kernarg_preload_length 0
		.amdhsa_user_sgpr_kernarg_preload_offset 0
		.amdhsa_user_sgpr_private_segment_size 0
		.amdhsa_uses_dynamic_stack 0
		.amdhsa_system_sgpr_private_segment_wavefront_offset 1
		.amdhsa_system_sgpr_workgroup_id_x 1
		.amdhsa_system_sgpr_workgroup_id_y 0
		.amdhsa_system_sgpr_workgroup_id_z 1
		.amdhsa_system_sgpr_workgroup_info 0
		.amdhsa_system_vgpr_workitem_id 2
		.amdhsa_next_free_vgpr 51
		.amdhsa_next_free_sgpr 83
		.amdhsa_accum_offset 52
		.amdhsa_reserve_vcc 1
		.amdhsa_reserve_flat_scratch 1
		.amdhsa_float_round_mode_32 0
		.amdhsa_float_round_mode_16_64 0
		.amdhsa_float_denorm_mode_32 3
		.amdhsa_float_denorm_mode_16_64 3
		.amdhsa_dx10_clamp 1
		.amdhsa_ieee_mode 1
		.amdhsa_fp16_overflow 0
		.amdhsa_tg_split 0
		.amdhsa_exception_fp_ieee_invalid_op 0
		.amdhsa_exception_fp_denorm_src 0
		.amdhsa_exception_fp_ieee_div_zero 0
		.amdhsa_exception_fp_ieee_overflow 0
		.amdhsa_exception_fp_ieee_underflow 0
		.amdhsa_exception_fp_ieee_inexact 0
		.amdhsa_exception_int_div_zero 0
	.end_amdhsa_kernel
	.section	.text._ZN9rocsolver6v33100L11stedcx_sortIffPfEEviPT0_lT1_iiliPiS6_,"axG",@progbits,_ZN9rocsolver6v33100L11stedcx_sortIffPfEEviPT0_lT1_iiliPiS6_,comdat
.Lfunc_end15:
	.size	_ZN9rocsolver6v33100L11stedcx_sortIffPfEEviPT0_lT1_iiliPiS6_, .Lfunc_end15-_ZN9rocsolver6v33100L11stedcx_sortIffPfEEviPT0_lT1_iiliPiS6_
                                        ; -- End function
	.section	.AMDGPU.csdata,"",@progbits
; Kernel info:
; codeLenInByte = 2460
; NumSgprs: 89
; NumVgprs: 51
; NumAgprs: 0
; TotalNumVgprs: 51
; ScratchSize: 64
; MemoryBound: 0
; FloatMode: 240
; IeeeMode: 1
; LDSByteSize: 0 bytes/workgroup (compile time only)
; SGPRBlocks: 11
; VGPRBlocks: 6
; NumSGPRsForWavesPerEU: 89
; NumVGPRsForWavesPerEU: 51
; AccumOffset: 52
; Occupancy: 8
; WaveLimiterHint : 1
; COMPUTE_PGM_RSRC2:SCRATCH_EN: 1
; COMPUTE_PGM_RSRC2:USER_SGPR: 8
; COMPUTE_PGM_RSRC2:TRAP_HANDLER: 0
; COMPUTE_PGM_RSRC2:TGID_X_EN: 1
; COMPUTE_PGM_RSRC2:TGID_Y_EN: 0
; COMPUTE_PGM_RSRC2:TGID_Z_EN: 1
; COMPUTE_PGM_RSRC2:TIDIG_COMP_CNT: 2
; COMPUTE_PGM_RSRC3_GFX90A:ACCUM_OFFSET: 12
; COMPUTE_PGM_RSRC3_GFX90A:TG_SPLIT: 0
	.section	.text._ZN9rocsolver6v33100L16reset_batch_infoIdiiPdEEvT2_lT0_T1_,"axG",@progbits,_ZN9rocsolver6v33100L16reset_batch_infoIdiiPdEEvT2_lT0_T1_,comdat
	.globl	_ZN9rocsolver6v33100L16reset_batch_infoIdiiPdEEvT2_lT0_T1_ ; -- Begin function _ZN9rocsolver6v33100L16reset_batch_infoIdiiPdEEvT2_lT0_T1_
	.p2align	8
	.type	_ZN9rocsolver6v33100L16reset_batch_infoIdiiPdEEvT2_lT0_T1_,@function
_ZN9rocsolver6v33100L16reset_batch_infoIdiiPdEEvT2_lT0_T1_: ; @_ZN9rocsolver6v33100L16reset_batch_infoIdiiPdEEvT2_lT0_T1_
; %bb.0:
	s_load_dword s2, s[4:5], 0x24
	s_load_dwordx2 s[0:1], s[4:5], 0x10
	s_waitcnt lgkmcnt(0)
	s_and_b32 s2, s2, 0xffff
	s_mul_i32 s6, s6, s2
	v_add_u32_e32 v0, s6, v0
	v_cmp_gt_i32_e32 vcc, s0, v0
	s_and_saveexec_b64 s[2:3], vcc
	s_cbranch_execz .LBB16_2
; %bb.1:
	s_load_dwordx4 s[8:11], s[4:5], 0x0
	s_ashr_i32 s0, s7, 31
	v_ashrrev_i32_e32 v1, 31, v0
	v_lshlrev_b64 v[0:1], 3, v[0:1]
	s_waitcnt lgkmcnt(0)
	s_mul_i32 s3, s7, s11
	s_mul_hi_u32 s4, s7, s10
	s_mul_i32 s0, s0, s10
	s_add_i32 s3, s4, s3
	s_mul_i32 s2, s7, s10
	s_add_i32 s3, s3, s0
	s_lshl_b64 s[2:3], s[2:3], 3
	s_add_u32 s0, s8, s2
	s_addc_u32 s2, s9, s3
	v_mov_b32_e32 v2, s2
	v_add_co_u32_e32 v0, vcc, s0, v0
	v_addc_co_u32_e32 v1, vcc, v2, v1, vcc
	v_cvt_f64_i32_e32 v[2:3], s1
	global_store_dwordx2 v[0:1], v[2:3], off
.LBB16_2:
	s_endpgm
	.section	.rodata,"a",@progbits
	.p2align	6, 0x0
	.amdhsa_kernel _ZN9rocsolver6v33100L16reset_batch_infoIdiiPdEEvT2_lT0_T1_
		.amdhsa_group_segment_fixed_size 0
		.amdhsa_private_segment_fixed_size 0
		.amdhsa_kernarg_size 280
		.amdhsa_user_sgpr_count 6
		.amdhsa_user_sgpr_private_segment_buffer 1
		.amdhsa_user_sgpr_dispatch_ptr 0
		.amdhsa_user_sgpr_queue_ptr 0
		.amdhsa_user_sgpr_kernarg_segment_ptr 1
		.amdhsa_user_sgpr_dispatch_id 0
		.amdhsa_user_sgpr_flat_scratch_init 0
		.amdhsa_user_sgpr_kernarg_preload_length 0
		.amdhsa_user_sgpr_kernarg_preload_offset 0
		.amdhsa_user_sgpr_private_segment_size 0
		.amdhsa_uses_dynamic_stack 0
		.amdhsa_system_sgpr_private_segment_wavefront_offset 0
		.amdhsa_system_sgpr_workgroup_id_x 1
		.amdhsa_system_sgpr_workgroup_id_y 1
		.amdhsa_system_sgpr_workgroup_id_z 0
		.amdhsa_system_sgpr_workgroup_info 0
		.amdhsa_system_vgpr_workitem_id 0
		.amdhsa_next_free_vgpr 4
		.amdhsa_next_free_sgpr 12
		.amdhsa_accum_offset 4
		.amdhsa_reserve_vcc 1
		.amdhsa_reserve_flat_scratch 0
		.amdhsa_float_round_mode_32 0
		.amdhsa_float_round_mode_16_64 0
		.amdhsa_float_denorm_mode_32 3
		.amdhsa_float_denorm_mode_16_64 3
		.amdhsa_dx10_clamp 1
		.amdhsa_ieee_mode 1
		.amdhsa_fp16_overflow 0
		.amdhsa_tg_split 0
		.amdhsa_exception_fp_ieee_invalid_op 0
		.amdhsa_exception_fp_denorm_src 0
		.amdhsa_exception_fp_ieee_div_zero 0
		.amdhsa_exception_fp_ieee_overflow 0
		.amdhsa_exception_fp_ieee_underflow 0
		.amdhsa_exception_fp_ieee_inexact 0
		.amdhsa_exception_int_div_zero 0
	.end_amdhsa_kernel
	.section	.text._ZN9rocsolver6v33100L16reset_batch_infoIdiiPdEEvT2_lT0_T1_,"axG",@progbits,_ZN9rocsolver6v33100L16reset_batch_infoIdiiPdEEvT2_lT0_T1_,comdat
.Lfunc_end16:
	.size	_ZN9rocsolver6v33100L16reset_batch_infoIdiiPdEEvT2_lT0_T1_, .Lfunc_end16-_ZN9rocsolver6v33100L16reset_batch_infoIdiiPdEEvT2_lT0_T1_
                                        ; -- End function
	.section	.AMDGPU.csdata,"",@progbits
; Kernel info:
; codeLenInByte = 140
; NumSgprs: 16
; NumVgprs: 4
; NumAgprs: 0
; TotalNumVgprs: 4
; ScratchSize: 0
; MemoryBound: 0
; FloatMode: 240
; IeeeMode: 1
; LDSByteSize: 0 bytes/workgroup (compile time only)
; SGPRBlocks: 1
; VGPRBlocks: 0
; NumSGPRsForWavesPerEU: 16
; NumVGPRsForWavesPerEU: 4
; AccumOffset: 4
; Occupancy: 8
; WaveLimiterHint : 0
; COMPUTE_PGM_RSRC2:SCRATCH_EN: 0
; COMPUTE_PGM_RSRC2:USER_SGPR: 6
; COMPUTE_PGM_RSRC2:TRAP_HANDLER: 0
; COMPUTE_PGM_RSRC2:TGID_X_EN: 1
; COMPUTE_PGM_RSRC2:TGID_Y_EN: 1
; COMPUTE_PGM_RSRC2:TGID_Z_EN: 0
; COMPUTE_PGM_RSRC2:TIDIG_COMP_CNT: 0
; COMPUTE_PGM_RSRC3_GFX90A:ACCUM_OFFSET: 0
; COMPUTE_PGM_RSRC3_GFX90A:TG_SPLIT: 0
	.section	.text._ZN9rocsolver6v33100L19stedcx_case1_kernelIdEEv15rocblas_erange_T_S3_PS3_lPiS4_l,"axG",@progbits,_ZN9rocsolver6v33100L19stedcx_case1_kernelIdEEv15rocblas_erange_T_S3_PS3_lPiS4_l,comdat
	.globl	_ZN9rocsolver6v33100L19stedcx_case1_kernelIdEEv15rocblas_erange_T_S3_PS3_lPiS4_l ; -- Begin function _ZN9rocsolver6v33100L19stedcx_case1_kernelIdEEv15rocblas_erange_T_S3_PS3_lPiS4_l
	.p2align	8
	.type	_ZN9rocsolver6v33100L19stedcx_case1_kernelIdEEv15rocblas_erange_T_S3_PS3_lPiS4_l,@function
_ZN9rocsolver6v33100L19stedcx_case1_kernelIdEEv15rocblas_erange_T_S3_PS3_lPiS4_l: ; @_ZN9rocsolver6v33100L19stedcx_case1_kernelIdEEv15rocblas_erange_T_S3_PS3_lPiS4_l
; %bb.0:
	s_load_dwordx8 s[8:15], s[4:5], 0x8
	s_load_dword s20, s[4:5], 0x0
	s_load_dwordx4 s[16:19], s[4:5], 0x28
	s_load_dwordx2 s[2:3], s[4:5], 0x38
	s_ashr_i32 s7, s6, 31
	s_waitcnt lgkmcnt(0)
	s_mul_i32 s0, s6, s15
	s_mul_hi_u32 s1, s6, s14
	s_add_i32 s0, s1, s0
	s_mul_i32 s1, s7, s14
	s_add_i32 s1, s0, s1
	s_mul_i32 s0, s6, s14
	s_lshl_b64 s[0:1], s[0:1], 3
	s_add_u32 s0, s12, s0
	s_addc_u32 s1, s13, s1
	s_load_dwordx2 s[4:5], s[0:1], 0x0
	s_cmpk_lg_i32 s20, 0xe8
	s_cselect_b64 s[12:13], -1, 0
	s_and_b64 vcc, exec, s[12:13]
	s_cbranch_vccnz .LBB17_2
; %bb.1:
	v_mov_b32_e32 v0, s8
	v_mov_b32_e32 v1, s9
	;; [unrolled: 1-line block ×4, first 2 shown]
	s_waitcnt lgkmcnt(0)
	v_cmp_nle_f64_e32 vcc, s[4:5], v[0:1]
	v_cmp_ngt_f64_e64 s[0:1], s[4:5], v[2:3]
	s_and_b64 s[12:13], vcc, s[0:1]
	s_mov_b64 s[0:1], -1
	s_andn2_b64 vcc, exec, s[12:13]
	s_cbranch_vccz .LBB17_3
	s_branch .LBB17_4
.LBB17_2:
	s_mov_b64 s[0:1], 0
	s_andn2_b64 vcc, exec, s[12:13]
	s_cbranch_vccnz .LBB17_4
.LBB17_3:
	s_mul_i32 s0, s6, s3
	s_mul_hi_u32 s1, s6, s2
	s_add_i32 s0, s1, s0
	s_mul_i32 s1, s7, s2
	s_add_i32 s1, s0, s1
	s_mul_i32 s0, s6, s2
	s_lshl_b64 s[0:1], s[0:1], 3
	s_add_u32 s0, s18, s0
	s_addc_u32 s1, s19, s1
	s_lshl_b64 s[2:3], s[6:7], 2
	s_add_u32 s2, s16, s2
	v_mov_b32_e32 v2, 0
	s_addc_u32 s3, s17, s3
	v_mov_b32_e32 v0, 1
	global_store_dword v2, v0, s[2:3]
	s_waitcnt lgkmcnt(0)
	v_pk_mov_b32 v[0:1], s[4:5], s[4:5] op_sel:[0,1]
	global_store_dwordx2 v2, v[0:1], s[0:1]
	s_mov_b64 s[0:1], 0
.LBB17_4:
	s_andn2_b64 vcc, exec, s[0:1]
	s_cbranch_vccnz .LBB17_6
; %bb.5:
	s_lshl_b64 s[0:1], s[6:7], 2
	s_add_u32 s0, s16, s0
	s_addc_u32 s1, s17, s1
	v_mov_b32_e32 v0, 0
	global_store_dword v0, v0, s[0:1]
.LBB17_6:
	s_endpgm
	.section	.rodata,"a",@progbits
	.p2align	6, 0x0
	.amdhsa_kernel _ZN9rocsolver6v33100L19stedcx_case1_kernelIdEEv15rocblas_erange_T_S3_PS3_lPiS4_l
		.amdhsa_group_segment_fixed_size 0
		.amdhsa_private_segment_fixed_size 0
		.amdhsa_kernarg_size 64
		.amdhsa_user_sgpr_count 6
		.amdhsa_user_sgpr_private_segment_buffer 1
		.amdhsa_user_sgpr_dispatch_ptr 0
		.amdhsa_user_sgpr_queue_ptr 0
		.amdhsa_user_sgpr_kernarg_segment_ptr 1
		.amdhsa_user_sgpr_dispatch_id 0
		.amdhsa_user_sgpr_flat_scratch_init 0
		.amdhsa_user_sgpr_kernarg_preload_length 0
		.amdhsa_user_sgpr_kernarg_preload_offset 0
		.amdhsa_user_sgpr_private_segment_size 0
		.amdhsa_uses_dynamic_stack 0
		.amdhsa_system_sgpr_private_segment_wavefront_offset 0
		.amdhsa_system_sgpr_workgroup_id_x 1
		.amdhsa_system_sgpr_workgroup_id_y 0
		.amdhsa_system_sgpr_workgroup_id_z 0
		.amdhsa_system_sgpr_workgroup_info 0
		.amdhsa_system_vgpr_workitem_id 0
		.amdhsa_next_free_vgpr 4
		.amdhsa_next_free_sgpr 21
		.amdhsa_accum_offset 4
		.amdhsa_reserve_vcc 1
		.amdhsa_reserve_flat_scratch 0
		.amdhsa_float_round_mode_32 0
		.amdhsa_float_round_mode_16_64 0
		.amdhsa_float_denorm_mode_32 3
		.amdhsa_float_denorm_mode_16_64 3
		.amdhsa_dx10_clamp 1
		.amdhsa_ieee_mode 1
		.amdhsa_fp16_overflow 0
		.amdhsa_tg_split 0
		.amdhsa_exception_fp_ieee_invalid_op 0
		.amdhsa_exception_fp_denorm_src 0
		.amdhsa_exception_fp_ieee_div_zero 0
		.amdhsa_exception_fp_ieee_overflow 0
		.amdhsa_exception_fp_ieee_underflow 0
		.amdhsa_exception_fp_ieee_inexact 0
		.amdhsa_exception_int_div_zero 0
	.end_amdhsa_kernel
	.section	.text._ZN9rocsolver6v33100L19stedcx_case1_kernelIdEEv15rocblas_erange_T_S3_PS3_lPiS4_l,"axG",@progbits,_ZN9rocsolver6v33100L19stedcx_case1_kernelIdEEv15rocblas_erange_T_S3_PS3_lPiS4_l,comdat
.Lfunc_end17:
	.size	_ZN9rocsolver6v33100L19stedcx_case1_kernelIdEEv15rocblas_erange_T_S3_PS3_lPiS4_l, .Lfunc_end17-_ZN9rocsolver6v33100L19stedcx_case1_kernelIdEEv15rocblas_erange_T_S3_PS3_lPiS4_l
                                        ; -- End function
	.section	.AMDGPU.csdata,"",@progbits
; Kernel info:
; codeLenInByte = 288
; NumSgprs: 25
; NumVgprs: 4
; NumAgprs: 0
; TotalNumVgprs: 4
; ScratchSize: 0
; MemoryBound: 0
; FloatMode: 240
; IeeeMode: 1
; LDSByteSize: 0 bytes/workgroup (compile time only)
; SGPRBlocks: 3
; VGPRBlocks: 0
; NumSGPRsForWavesPerEU: 25
; NumVGPRsForWavesPerEU: 4
; AccumOffset: 4
; Occupancy: 8
; WaveLimiterHint : 0
; COMPUTE_PGM_RSRC2:SCRATCH_EN: 0
; COMPUTE_PGM_RSRC2:USER_SGPR: 6
; COMPUTE_PGM_RSRC2:TRAP_HANDLER: 0
; COMPUTE_PGM_RSRC2:TGID_X_EN: 1
; COMPUTE_PGM_RSRC2:TGID_Y_EN: 0
; COMPUTE_PGM_RSRC2:TGID_Z_EN: 0
; COMPUTE_PGM_RSRC2:TIDIG_COMP_CNT: 0
; COMPUTE_PGM_RSRC3_GFX90A:ACCUM_OFFSET: 0
; COMPUTE_PGM_RSRC3_GFX90A:TG_SPLIT: 0
	.section	.text._ZN9rocsolver6v33100L10init_identIdPdEEviiT0_iil,"axG",@progbits,_ZN9rocsolver6v33100L10init_identIdPdEEviiT0_iil,comdat
	.globl	_ZN9rocsolver6v33100L10init_identIdPdEEviiT0_iil ; -- Begin function _ZN9rocsolver6v33100L10init_identIdPdEEviiT0_iil
	.p2align	8
	.type	_ZN9rocsolver6v33100L10init_identIdPdEEviiT0_iil,@function
_ZN9rocsolver6v33100L10init_identIdPdEEviiT0_iil: ; @_ZN9rocsolver6v33100L10init_identIdPdEEviiT0_iil
; %bb.0:
	s_load_dword s2, s[4:5], 0x2c
	s_load_dwordx2 s[0:1], s[4:5], 0x0
	v_and_b32_e32 v1, 0x3ff, v0
	v_bfe_u32 v0, v0, 10, 10
	s_waitcnt lgkmcnt(0)
	s_lshr_b32 s3, s2, 16
	s_and_b32 s2, s2, 0xffff
	s_mul_i32 s6, s6, s2
	s_mul_i32 s7, s7, s3
	v_add_u32_e32 v2, s6, v1
	v_add_u32_e32 v1, s7, v0
	v_cmp_gt_u32_e32 vcc, s0, v2
	v_cmp_gt_u32_e64 s[0:1], s1, v1
	s_and_b64 s[0:1], vcc, s[0:1]
	s_and_saveexec_b64 s[2:3], s[0:1]
	s_cbranch_execz .LBB18_6
; %bb.1:
	s_load_dwordx2 s[0:1], s[4:5], 0x10
	v_cmp_ne_u32_e32 vcc, v2, v1
                                        ; implicit-def: $sgpr2_sgpr3
                                        ; implicit-def: $vgpr0
	s_and_saveexec_b64 s[6:7], vcc
	s_xor_b64 s[6:7], exec, s[6:7]
	s_cbranch_execz .LBB18_3
; %bb.2:
	s_waitcnt lgkmcnt(0)
	v_mad_u64_u32 v[0:1], s[2:3], v1, s1, v[2:3]
	s_mov_b64 s[2:3], 0
                                        ; implicit-def: $vgpr2
.LBB18_3:
	s_or_saveexec_b64 s[6:7], s[6:7]
	v_pk_mov_b32 v[4:5], s[2:3], s[2:3] op_sel:[0,1]
	s_xor_b64 exec, exec, s[6:7]
	s_cbranch_execz .LBB18_5
; %bb.4:
	v_mov_b32_e32 v4, 0
	s_waitcnt lgkmcnt(0)
	v_mad_u64_u32 v[0:1], s[2:3], v2, s1, v[2:3]
	v_mov_b32_e32 v5, 0x3ff00000
.LBB18_5:
	s_or_b64 exec, exec, s[6:7]
	s_load_dwordx2 s[2:3], s[4:5], 0x18
	s_load_dwordx2 s[6:7], s[4:5], 0x8
	s_waitcnt lgkmcnt(0)
	s_ashr_i32 s1, s0, 31
	v_mov_b32_e32 v1, 0
	v_lshlrev_b64 v[0:1], 3, v[0:1]
	s_mul_i32 s3, s8, s3
	s_mul_hi_u32 s4, s8, s2
	s_mul_i32 s2, s8, s2
	s_add_i32 s3, s4, s3
	s_lshl_b64 s[2:3], s[2:3], 3
	s_add_u32 s2, s6, s2
	s_addc_u32 s3, s7, s3
	s_lshl_b64 s[0:1], s[0:1], 3
	s_add_u32 s0, s2, s0
	s_addc_u32 s1, s3, s1
	v_mov_b32_e32 v2, s1
	v_add_co_u32_e32 v0, vcc, s0, v0
	v_addc_co_u32_e32 v1, vcc, v2, v1, vcc
	global_store_dwordx2 v[0:1], v[4:5], off
.LBB18_6:
	s_endpgm
	.section	.rodata,"a",@progbits
	.p2align	6, 0x0
	.amdhsa_kernel _ZN9rocsolver6v33100L10init_identIdPdEEviiT0_iil
		.amdhsa_group_segment_fixed_size 0
		.amdhsa_private_segment_fixed_size 0
		.amdhsa_kernarg_size 288
		.amdhsa_user_sgpr_count 6
		.amdhsa_user_sgpr_private_segment_buffer 1
		.amdhsa_user_sgpr_dispatch_ptr 0
		.amdhsa_user_sgpr_queue_ptr 0
		.amdhsa_user_sgpr_kernarg_segment_ptr 1
		.amdhsa_user_sgpr_dispatch_id 0
		.amdhsa_user_sgpr_flat_scratch_init 0
		.amdhsa_user_sgpr_kernarg_preload_length 0
		.amdhsa_user_sgpr_kernarg_preload_offset 0
		.amdhsa_user_sgpr_private_segment_size 0
		.amdhsa_uses_dynamic_stack 0
		.amdhsa_system_sgpr_private_segment_wavefront_offset 0
		.amdhsa_system_sgpr_workgroup_id_x 1
		.amdhsa_system_sgpr_workgroup_id_y 1
		.amdhsa_system_sgpr_workgroup_id_z 1
		.amdhsa_system_sgpr_workgroup_info 0
		.amdhsa_system_vgpr_workitem_id 1
		.amdhsa_next_free_vgpr 6
		.amdhsa_next_free_sgpr 9
		.amdhsa_accum_offset 8
		.amdhsa_reserve_vcc 1
		.amdhsa_reserve_flat_scratch 0
		.amdhsa_float_round_mode_32 0
		.amdhsa_float_round_mode_16_64 0
		.amdhsa_float_denorm_mode_32 3
		.amdhsa_float_denorm_mode_16_64 3
		.amdhsa_dx10_clamp 1
		.amdhsa_ieee_mode 1
		.amdhsa_fp16_overflow 0
		.amdhsa_tg_split 0
		.amdhsa_exception_fp_ieee_invalid_op 0
		.amdhsa_exception_fp_denorm_src 0
		.amdhsa_exception_fp_ieee_div_zero 0
		.amdhsa_exception_fp_ieee_overflow 0
		.amdhsa_exception_fp_ieee_underflow 0
		.amdhsa_exception_fp_ieee_inexact 0
		.amdhsa_exception_int_div_zero 0
	.end_amdhsa_kernel
	.section	.text._ZN9rocsolver6v33100L10init_identIdPdEEviiT0_iil,"axG",@progbits,_ZN9rocsolver6v33100L10init_identIdPdEEviiT0_iil,comdat
.Lfunc_end18:
	.size	_ZN9rocsolver6v33100L10init_identIdPdEEviiT0_iil, .Lfunc_end18-_ZN9rocsolver6v33100L10init_identIdPdEEviiT0_iil
                                        ; -- End function
	.section	.AMDGPU.csdata,"",@progbits
; Kernel info:
; codeLenInByte = 276
; NumSgprs: 13
; NumVgprs: 6
; NumAgprs: 0
; TotalNumVgprs: 6
; ScratchSize: 0
; MemoryBound: 0
; FloatMode: 240
; IeeeMode: 1
; LDSByteSize: 0 bytes/workgroup (compile time only)
; SGPRBlocks: 1
; VGPRBlocks: 0
; NumSGPRsForWavesPerEU: 13
; NumVGPRsForWavesPerEU: 6
; AccumOffset: 8
; Occupancy: 8
; WaveLimiterHint : 0
; COMPUTE_PGM_RSRC2:SCRATCH_EN: 0
; COMPUTE_PGM_RSRC2:USER_SGPR: 6
; COMPUTE_PGM_RSRC2:TRAP_HANDLER: 0
; COMPUTE_PGM_RSRC2:TGID_X_EN: 1
; COMPUTE_PGM_RSRC2:TGID_Y_EN: 1
; COMPUTE_PGM_RSRC2:TGID_Z_EN: 1
; COMPUTE_PGM_RSRC2:TIDIG_COMP_CNT: 1
; COMPUTE_PGM_RSRC3_GFX90A:ACCUM_OFFSET: 1
; COMPUTE_PGM_RSRC3_GFX90A:TG_SPLIT: 0
	.section	.text._ZN9rocsolver6v33100L19stedcx_split_kernelIdEEv15rocblas_erange_iT_S3_iiPS3_lS4_lS4_lPiS4_S3_S3_,"axG",@progbits,_ZN9rocsolver6v33100L19stedcx_split_kernelIdEEv15rocblas_erange_iT_S3_iiPS3_lS4_lS4_lPiS4_S3_S3_,comdat
	.globl	_ZN9rocsolver6v33100L19stedcx_split_kernelIdEEv15rocblas_erange_iT_S3_iiPS3_lS4_lS4_lPiS4_S3_S3_ ; -- Begin function _ZN9rocsolver6v33100L19stedcx_split_kernelIdEEv15rocblas_erange_iT_S3_iiPS3_lS4_lS4_lPiS4_S3_S3_
	.p2align	8
	.type	_ZN9rocsolver6v33100L19stedcx_split_kernelIdEEv15rocblas_erange_iT_S3_iiPS3_lS4_lS4_lPiS4_S3_S3_,@function
_ZN9rocsolver6v33100L19stedcx_split_kernelIdEEv15rocblas_erange_iT_S3_iiPS3_lS4_lS4_lPiS4_S3_S3_: ; @_ZN9rocsolver6v33100L19stedcx_split_kernelIdEEv15rocblas_erange_iT_S3_iiPS3_lS4_lS4_lPiS4_S3_S3_
; %bb.0:
	s_load_dwordx16 s[12:27], s[4:5], 0x20
	s_load_dwordx2 s[34:35], s[4:5], 0x0
	s_ashr_i32 s50, s7, 31
	v_lshlrev_b32_e32 v1, 3, v0
	s_waitcnt lgkmcnt(0)
	s_mul_i32 s0, s7, s15
	s_mul_hi_u32 s1, s7, s14
	s_add_i32 s0, s1, s0
	s_mul_i32 s1, s50, s14
	s_add_i32 s43, s0, s1
	s_ashr_i32 s15, s35, 31
	s_lshl_b32 s6, s35, 2
	s_cmpk_eq_i32 s34, 0xe9
	s_cselect_b64 s[44:45], -1, 0
	v_cmp_gt_i32_e32 vcc, s35, v0
	s_mul_i32 s42, s7, s14
	s_mov_b32 s14, s35
	s_and_b64 s[2:3], s[44:45], vcc
	s_and_saveexec_b64 s[0:1], s[2:3]
	s_cbranch_execz .LBB19_3
; %bb.1:
	s_load_dword s10, s[4:5], 0x7c
	s_add_i32 s8, s6, 2
	s_mul_i32 s8, s7, s8
	s_ashr_i32 s9, s8, 31
	s_lshl_b64 s[2:3], s[14:15], 3
	s_waitcnt lgkmcnt(0)
	s_and_b32 s10, s10, 0xffff
	s_lshl_b64 s[8:9], s[8:9], 3
	s_add_u32 s2, s2, s8
	s_addc_u32 s3, s3, s9
	s_add_u32 s2, s26, s2
	s_addc_u32 s3, s27, s3
	v_mov_b32_e32 v2, s3
	v_add_co_u32_e32 v3, vcc, s2, v1
	v_addc_co_u32_e32 v4, vcc, 0, v2, vcc
	s_lshl_b32 s11, s10, 3
	s_lshl_b64 s[2:3], s[42:43], 3
	v_add_co_u32_e32 v2, vcc, 16, v3
	s_add_u32 s2, s12, s2
	v_addc_co_u32_e32 v3, vcc, 0, v4, vcc
	s_addc_u32 s3, s13, s3
	v_mov_b32_e32 v5, s3
	v_add_co_u32_e32 v4, vcc, s2, v1
	v_addc_co_u32_e32 v5, vcc, 0, v5, vcc
	s_mov_b64 s[2:3], 0
	s_mov_b64 s[8:9], 0
	v_mov_b32_e32 v6, v0
.LBB19_2:                               ; =>This Inner Loop Header: Depth=1
	v_mov_b32_e32 v7, s9
	v_add_co_u32_e32 v8, vcc, s8, v4
	v_addc_co_u32_e32 v9, vcc, v5, v7, vcc
	global_load_dwordx2 v[8:9], v[8:9], off
	v_add_co_u32_e32 v10, vcc, s8, v2
	v_add_u32_e32 v6, s10, v6
	s_add_u32 s8, s8, s11
	v_addc_co_u32_e32 v11, vcc, v3, v7, vcc
	s_addc_u32 s9, s9, 0
	v_cmp_le_i32_e32 vcc, s35, v6
	s_or_b64 s[2:3], vcc, s[2:3]
	s_waitcnt vmcnt(0)
	global_store_dwordx2 v[10:11], v[8:9], off
	s_andn2_b64 exec, exec, s[2:3]
	s_cbranch_execnz .LBB19_2
.LBB19_3:
	s_or_b64 exec, exec, s[0:1]
	s_add_i32 s33, s35, -1
	s_ashr_i32 s0, s33, 31
	s_lshr_b32 s0, s0, 24
	s_add_i32 s0, s33, s0
	s_ashr_i32 s1, s0, 8
	s_and_b32 s0, s0, 0xffffff00
	s_sub_i32 s0, s33, s0
	v_mov_b32_e32 v3, s1
	v_cmp_gt_i32_e32 vcc, s0, v0
	v_addc_co_u32_e32 v21, vcc, 0, v3, vcc
	v_mov_b32_e32 v2, 0
	v_lshlrev_b32_e32 v20, 2, v0
	v_cmp_eq_u32_e64 s[0:1], 0, v0
	v_cmp_ne_u32_e32 vcc, 0, v0
	v_mov_b32_e32 v4, 0
	ds_write_b32 v20, v21 offset:2048
	s_waitcnt lgkmcnt(0)
	s_barrier
	s_and_saveexec_b64 s[8:9], vcc
	s_cbranch_execz .LBB19_19
; %bb.4:
	v_cmp_lt_u32_e64 s[2:3], 3, v0
	s_mov_b64 s[28:29], -1
	s_mov_b32 s30, 0
	v_mov_b32_e32 v4, 0
	v_mov_b32_e32 v3, 0
	s_and_saveexec_b64 s[10:11], s[2:3]
	s_cbranch_execz .LBB19_14
; %bb.5:
	v_add_u32_e32 v4, -4, v0
	v_lshrrev_b32_e32 v3, 2, v4
	s_mov_b32 s31, s30
	v_add_u32_e32 v3, 1, v3
	v_cmp_lt_u32_e64 s[2:3], 27, v4
	v_pk_mov_b32 v[6:7], s[30:31], s[30:31] op_sel:[0,1]
	v_mov_b32_e32 v9, 0
	v_pk_mov_b32 v[4:5], s[30:31], s[30:31] op_sel:[0,1]
	s_and_saveexec_b64 s[28:29], s[2:3]
	s_cbranch_execz .LBB19_9
; %bb.6:
	v_and_b32_e32 v8, 0x7ffffff8, v3
	s_mov_b32 s36, 0
	s_movk_i32 s37, 0x800
	s_mov_b64 s[30:31], 0
	v_mov_b32_e32 v4, 0
	v_mov_b32_e32 v5, 0
	;; [unrolled: 1-line block ×4, first 2 shown]
.LBB19_7:                               ; =>This Inner Loop Header: Depth=1
	v_mov_b32_e32 v9, s37
	ds_read_b128 v[10:13], v9
	ds_read_b128 v[14:17], v9 offset:16
	ds_read_b128 v[22:25], v9 offset:32
	;; [unrolled: 1-line block ×7, first 2 shown]
	s_waitcnt lgkmcnt(7)
	v_add_u32_e32 v4, v10, v4
	v_add_u32_e32 v5, v11, v5
	v_add_u32_e32 v6, v12, v6
	v_add_u32_e32 v7, v13, v7
	s_waitcnt lgkmcnt(6)
	v_add_u32_e32 v5, v15, v5
	v_add_u32_e32 v4, v14, v4
	v_add_u32_e32 v7, v17, v7
	v_add_u32_e32 v6, v16, v6
	;; [unrolled: 5-line block ×5, first 2 shown]
	v_add_u32_e32 v8, -8, v8
	s_waitcnt lgkmcnt(2)
	v_add_u32_e32 v5, v35, v5
	v_add_u32_e32 v4, v34, v4
	;; [unrolled: 1-line block ×4, first 2 shown]
	s_add_i32 s36, s36, 32
	s_addk_i32 s37, 0x80
	v_cmp_eq_u32_e64 s[2:3], 0, v8
	s_waitcnt lgkmcnt(1)
	v_add_u32_e32 v4, v38, v4
	v_add_u32_e32 v5, v39, v5
	;; [unrolled: 1-line block ×4, first 2 shown]
	v_mov_b32_e32 v9, s36
	s_or_b64 s[30:31], s[2:3], s[30:31]
	s_waitcnt lgkmcnt(0)
	v_add_u32_e32 v5, v43, v5
	v_add_u32_e32 v4, v42, v4
	v_add_u32_e32 v7, v45, v7
	v_add_u32_e32 v6, v44, v6
	s_andn2_b64 exec, exec, s[30:31]
	s_cbranch_execnz .LBB19_7
; %bb.8:
	s_or_b64 exec, exec, s[30:31]
.LBB19_9:
	s_or_b64 exec, exec, s[28:29]
	v_and_b32_e32 v3, 7, v3
	v_cmp_ne_u32_e64 s[2:3], 0, v3
	s_and_saveexec_b64 s[28:29], s[2:3]
	s_cbranch_execz .LBB19_13
; %bb.10:
	v_mov_b32_e32 v8, 0x800
	v_lshl_add_u32 v8, v9, 2, v8
	s_mov_b64 s[30:31], 0
.LBB19_11:                              ; =>This Inner Loop Header: Depth=1
	ds_read_b128 v[10:13], v8
	v_add_u32_e32 v3, -1, v3
	v_cmp_eq_u32_e64 s[2:3], 0, v3
	v_add_u32_e32 v8, 16, v8
	s_or_b64 s[30:31], s[2:3], s[30:31]
	s_waitcnt lgkmcnt(0)
	v_add_u32_e32 v5, v11, v5
	v_add_u32_e32 v4, v10, v4
	;; [unrolled: 1-line block ×4, first 2 shown]
	s_andn2_b64 exec, exec, s[30:31]
	s_cbranch_execnz .LBB19_11
; %bb.12:
	s_or_b64 exec, exec, s[30:31]
.LBB19_13:
	s_or_b64 exec, exec, s[28:29]
	v_and_b32_e32 v3, 0xfc, v0
	v_add_u32_e32 v5, v7, v5
	v_cmp_ne_u32_e64 s[2:3], v0, v3
	v_add3_u32 v4, v6, v4, v5
	s_orn2_b64 s[28:29], s[2:3], exec
.LBB19_14:
	s_or_b64 exec, exec, s[10:11]
	s_and_saveexec_b64 s[10:11], s[28:29]
	s_cbranch_execz .LBB19_18
; %bb.15:
	v_mov_b32_e32 v6, 0x800
	v_sub_u32_e32 v5, v0, v3
	v_lshl_or_b32 v3, v3, 2, v6
	s_mov_b64 s[28:29], 0
.LBB19_16:                              ; =>This Inner Loop Header: Depth=1
	ds_read_b32 v6, v3
	v_add_u32_e32 v5, -1, v5
	v_cmp_eq_u32_e64 s[2:3], 0, v5
	v_add_u32_e32 v3, 4, v3
	s_or_b64 s[28:29], s[2:3], s[28:29]
	s_waitcnt lgkmcnt(0)
	v_add_u32_e32 v4, v6, v4
	s_andn2_b64 exec, exec, s[28:29]
	s_cbranch_execnz .LBB19_16
; %bb.17:
	s_or_b64 exec, exec, s[28:29]
.LBB19_18:
	s_or_b64 exec, exec, s[10:11]
.LBB19_19:
	s_or_b64 exec, exec, s[8:9]
	s_mul_i32 s2, s7, s23
	s_mul_hi_u32 s3, s7, s22
	s_add_i32 s2, s3, s2
	s_mul_i32 s3, s50, s22
	s_add_i32 s49, s2, s3
	s_mul_i32 s2, s35, 5
	;; [unrolled: 2-line block ×3, first 2 shown]
	s_ashr_i32 s3, s2, 31
	s_mul_i32 s48, s7, s22
	s_lshl_b64 s[22:23], s[2:3], 2
	s_add_u32 s8, s24, s22
	s_addc_u32 s9, s25, s23
	s_lshl_b64 s[36:37], s[14:15], 2
	s_add_u32 s46, s8, s36
	s_addc_u32 s47, s9, s37
	s_lshl_b32 s38, s35, 1
	s_ashr_i32 s39, s38, 31
	s_lshl_b64 s[40:41], s[38:39], 2
	s_add_u32 s2, s46, s40
	s_load_dwordx4 s[28:31], s[4:5], 0x60
	v_ashrrev_i32_e32 v5, 31, v4
	s_addc_u32 s3, s47, s41
	v_lshlrev_b64 v[6:7], 2, v[4:5]
	v_mov_b32_e32 v3, s3
	v_add_co_u32_e64 v22, s[2:3], s2, v6
	v_addc_co_u32_e64 v23, s[2:3], v3, v7, s[2:3]
	v_cmp_lt_i32_e64 s[2:3], 0, v21
	s_and_saveexec_b64 s[10:11], s[2:3]
	s_cbranch_execz .LBB19_25
; %bb.20:
	v_add_co_u32_e64 v24, s[2:3], 8, v22
	v_addc_co_u32_e64 v25, s[2:3], 0, v23, s[2:3]
	s_add_i32 s2, s6, 2
	s_mul_i32 s2, s7, s2
	s_ashr_i32 s3, s2, 31
	s_lshl_b64 s[2:3], s[2:3], 3
	s_add_u32 s2, s26, s2
	v_lshlrev_b64 v[2:3], 3, v[4:5]
	s_addc_u32 s3, s27, s3
	v_mov_b32_e32 v5, s3
	v_add_co_u32_e64 v6, s[2:3], s2, v2
	v_addc_co_u32_e64 v5, s[2:3], v5, v3, s[2:3]
	v_add_co_u32_e64 v6, s[2:3], 24, v6
	v_addc_co_u32_e64 v7, s[2:3], 0, v5, s[2:3]
	s_mul_i32 s2, s18, s50
	s_mul_hi_u32 s3, s18, s7
	s_add_i32 s2, s3, s2
	s_mul_i32 s3, s19, s7
	s_add_i32 s3, s2, s3
	s_mul_i32 s2, s18, s7
	s_lshl_b64 s[2:3], s[2:3], 3
	s_add_u32 s2, s16, s2
	s_addc_u32 s3, s17, s3
	v_mov_b32_e32 v5, s3
	v_add_co_u32_e64 v8, s[2:3], s2, v2
	v_addc_co_u32_e64 v9, s[2:3], v5, v3, s[2:3]
	s_lshl_b64 s[2:3], s[42:43], 3
	s_add_u32 s2, s12, s2
	s_addc_u32 s3, s13, s3
	v_mov_b32_e32 v5, s3
	v_add_co_u32_e64 v10, s[2:3], s2, v2
	v_addc_co_u32_e64 v11, s[2:3], v5, v3, s[2:3]
	;; [unrolled: 6-line block ×3, first 2 shown]
	s_mov_b64 s[16:17], 0
	v_mov_b32_e32 v2, 0
	s_waitcnt lgkmcnt(0)
	v_pk_mov_b32 v[14:15], s[30:31], s[30:31] op_sel:[0,1]
	s_branch .LBB19_22
.LBB19_21:                              ;   in Loop: Header=BB19_22 Depth=1
	s_or_b64 exec, exec, s[18:19]
	global_store_dwordx2 v[6:7], v[18:19], off
	global_store_dwordx2 v[12:13], v[16:17], off
	v_add_co_u32_e64 v6, s[2:3], 8, v6
	v_addc_co_u32_e64 v7, s[2:3], 0, v7, s[2:3]
	v_add_co_u32_e64 v8, s[2:3], 8, v8
	v_addc_co_u32_e64 v9, s[2:3], 0, v9, s[2:3]
	v_add_co_u32_e64 v10, s[2:3], 8, v10
	v_add_u32_e32 v21, -1, v21
	v_addc_co_u32_e64 v11, s[2:3], 0, v11, s[2:3]
	v_cmp_eq_u32_e64 s[2:3], 0, v21
	s_or_b64 s[16:17], s[2:3], s[16:17]
	v_add_co_u32_e64 v12, s[2:3], 8, v12
	v_add_u32_e32 v4, 1, v4
	v_addc_co_u32_e64 v13, s[2:3], 0, v13, s[2:3]
	s_andn2_b64 exec, exec, s[16:17]
	s_cbranch_execz .LBB19_24
.LBB19_22:                              ; =>This Inner Loop Header: Depth=1
	global_load_dwordx2 v[16:17], v[8:9], off
	global_load_dwordx4 v[26:29], v[10:11], off
	s_waitcnt vmcnt(1)
	v_mul_f64 v[18:19], v[16:17], v[16:17]
	s_waitcnt vmcnt(0)
	v_mul_f64 v[26:27], v[26:27], v[28:29]
	v_mul_f64 v[26:27], |v[26:27]|, s[28:29]
	v_fma_f64 v[26:27], s[28:29], v[26:27], v[14:15]
	v_cmp_gt_f64_e64 s[2:3], v[26:27], v[18:19]
	s_and_saveexec_b64 s[18:19], s[2:3]
	s_cbranch_execz .LBB19_21
; %bb.23:                               ;   in Loop: Header=BB19_22 Depth=1
	v_ashrrev_i32_e32 v3, 31, v2
	v_add_u32_e32 v5, 1, v2
	v_lshlrev_b64 v[2:3], 2, v[2:3]
	v_add_co_u32_e64 v2, s[2:3], v24, v2
	v_addc_co_u32_e64 v3, s[2:3], v25, v3, s[2:3]
	v_pk_mov_b32 v[18:19], 0, 0
	global_store_dword v[2:3], v4, off
	v_pk_mov_b32 v[16:17], v[18:19], v[18:19] op_sel:[0,1]
	v_mov_b32_e32 v2, v5
	s_branch .LBB19_21
.LBB19_24:
	s_or_b64 exec, exec, s[16:17]
.LBB19_25:
	s_or_b64 exec, exec, s[10:11]
	v_or_b32_e32 v10, 0x800, v20
	v_mov_b32_e32 v4, 1
	ds_write_b32 v10, v2
	s_waitcnt lgkmcnt(0)
	s_barrier
	s_and_saveexec_b64 s[2:3], vcc
	s_cbranch_execz .LBB19_41
; %bb.26:
	v_cmp_lt_u32_e32 vcc, 3, v0
	s_mov_b64 s[16:17], -1
	v_mov_b32_e32 v4, 1
	v_mov_b32_e32 v3, 0
	s_and_saveexec_b64 s[10:11], vcc
	s_cbranch_execz .LBB19_36
; %bb.27:
	v_add_u32_e32 v4, -4, v0
	s_mov_b32 s17, 0
	v_lshrrev_b32_e32 v3, 2, v4
	s_mov_b32 s16, 1
	s_mov_b32 s18, s17
	;; [unrolled: 1-line block ×3, first 2 shown]
	v_add_u32_e32 v3, 1, v3
	v_cmp_lt_u32_e32 vcc, 27, v4
	v_pk_mov_b32 v[6:7], s[18:19], s[18:19] op_sel:[0,1]
	v_pk_mov_b32 v[4:5], s[16:17], s[16:17] op_sel:[0,1]
	v_mov_b32_e32 v9, 0
	s_and_saveexec_b64 s[18:19], vcc
	s_cbranch_execz .LBB19_31
; %bb.28:
	v_and_b32_e32 v8, 0x7ffffff8, v3
	s_movk_i32 s16, 0x800
	s_mov_b64 s[50:51], 0
	v_mov_b32_e32 v5, 0
	v_mov_b32_e32 v4, 1
	;; [unrolled: 1-line block ×4, first 2 shown]
.LBB19_29:                              ; =>This Inner Loop Header: Depth=1
	v_mov_b32_e32 v9, s16
	ds_read_b128 v[12:15], v9
	ds_read_b128 v[16:19], v9 offset:16
	ds_read_b128 v[24:27], v9 offset:32
	;; [unrolled: 1-line block ×7, first 2 shown]
	s_waitcnt lgkmcnt(7)
	v_add_u32_e32 v4, v12, v4
	v_add_u32_e32 v5, v13, v5
	v_add_u32_e32 v6, v14, v6
	v_add_u32_e32 v7, v15, v7
	s_waitcnt lgkmcnt(6)
	v_add_u32_e32 v5, v17, v5
	v_add_u32_e32 v4, v16, v4
	v_add_u32_e32 v7, v19, v7
	v_add_u32_e32 v6, v18, v6
	s_waitcnt lgkmcnt(5)
	v_add_u32_e32 v4, v24, v4
	v_add_u32_e32 v5, v25, v5
	v_add_u32_e32 v6, v26, v6
	v_add_u32_e32 v7, v27, v7
	s_waitcnt lgkmcnt(4)
	v_add_u32_e32 v5, v29, v5
	v_add_u32_e32 v4, v28, v4
	v_add_u32_e32 v7, v31, v7
	v_add_u32_e32 v6, v30, v6
	s_waitcnt lgkmcnt(3)
	v_add_u32_e32 v4, v32, v4
	v_add_u32_e32 v5, v33, v5
	v_add_u32_e32 v6, v34, v6
	v_add_u32_e32 v7, v35, v7
	v_add_u32_e32 v8, -8, v8
	s_waitcnt lgkmcnt(2)
	v_add_u32_e32 v5, v37, v5
	v_add_u32_e32 v4, v36, v4
	;; [unrolled: 1-line block ×4, first 2 shown]
	s_add_i32 s17, s17, 32
	s_addk_i32 s16, 0x80
	v_cmp_eq_u32_e32 vcc, 0, v8
	s_waitcnt lgkmcnt(1)
	v_add_u32_e32 v4, v40, v4
	v_add_u32_e32 v5, v41, v5
	;; [unrolled: 1-line block ×4, first 2 shown]
	v_mov_b32_e32 v9, s17
	s_or_b64 s[50:51], vcc, s[50:51]
	s_waitcnt lgkmcnt(0)
	v_add_u32_e32 v5, v45, v5
	v_add_u32_e32 v4, v44, v4
	;; [unrolled: 1-line block ×4, first 2 shown]
	s_andn2_b64 exec, exec, s[50:51]
	s_cbranch_execnz .LBB19_29
; %bb.30:
	s_or_b64 exec, exec, s[50:51]
.LBB19_31:
	s_or_b64 exec, exec, s[18:19]
	v_and_b32_e32 v3, 7, v3
	v_cmp_ne_u32_e32 vcc, 0, v3
	s_and_saveexec_b64 s[16:17], vcc
	s_cbranch_execz .LBB19_35
; %bb.32:
	v_mov_b32_e32 v8, 0x800
	v_lshl_add_u32 v8, v9, 2, v8
	s_mov_b64 s[18:19], 0
.LBB19_33:                              ; =>This Inner Loop Header: Depth=1
	ds_read_b128 v[12:15], v8
	v_add_u32_e32 v3, -1, v3
	v_cmp_eq_u32_e32 vcc, 0, v3
	v_add_u32_e32 v8, 16, v8
	s_or_b64 s[18:19], vcc, s[18:19]
	s_waitcnt lgkmcnt(0)
	v_add_u32_e32 v5, v13, v5
	v_add_u32_e32 v4, v12, v4
	;; [unrolled: 1-line block ×4, first 2 shown]
	s_andn2_b64 exec, exec, s[18:19]
	s_cbranch_execnz .LBB19_33
; %bb.34:
	s_or_b64 exec, exec, s[18:19]
.LBB19_35:
	s_or_b64 exec, exec, s[16:17]
	v_and_b32_e32 v3, 0xfc, v0
	v_add_u32_e32 v5, v7, v5
	v_cmp_ne_u32_e32 vcc, v0, v3
	v_add3_u32 v4, v6, v4, v5
	s_orn2_b64 s[16:17], vcc, exec
.LBB19_36:
	s_or_b64 exec, exec, s[10:11]
	s_and_saveexec_b64 s[10:11], s[16:17]
	s_cbranch_execz .LBB19_40
; %bb.37:
	v_mov_b32_e32 v6, 0x800
	v_sub_u32_e32 v5, v0, v3
	v_lshl_or_b32 v3, v3, 2, v6
	s_mov_b64 s[16:17], 0
.LBB19_38:                              ; =>This Inner Loop Header: Depth=1
	ds_read_b32 v6, v3
	v_add_u32_e32 v5, -1, v5
	v_cmp_eq_u32_e32 vcc, 0, v5
	v_add_u32_e32 v3, 4, v3
	s_or_b64 s[16:17], vcc, s[16:17]
	s_waitcnt lgkmcnt(0)
	v_add_u32_e32 v4, v6, v4
	s_andn2_b64 exec, exec, s[16:17]
	s_cbranch_execnz .LBB19_38
; %bb.39:
	s_or_b64 exec, exec, s[16:17]
.LBB19_40:
	s_or_b64 exec, exec, s[10:11]
.LBB19_41:
	s_or_b64 exec, exec, s[2:3]
	v_cmp_lt_i32_e32 vcc, 0, v2
	s_and_saveexec_b64 s[2:3], vcc
	s_cbranch_execz .LBB19_44
; %bb.42:
	v_add_co_u32_e32 v6, vcc, 8, v22
	v_ashrrev_i32_e32 v5, 31, v4
	s_add_u32 s10, s24, s22
	v_addc_co_u32_e32 v7, vcc, 0, v23, vcc
	v_lshlrev_b64 v[8:9], 2, v[4:5]
	s_addc_u32 s11, s25, s23
	v_mov_b32_e32 v3, s11
	v_add_co_u32_e32 v8, vcc, s10, v8
	v_addc_co_u32_e32 v9, vcc, v3, v9, vcc
	s_mov_b64 s[10:11], 0
	v_mov_b32_e32 v3, v2
.LBB19_43:                              ; =>This Inner Loop Header: Depth=1
	global_load_dword v5, v[6:7], off
	v_add_co_u32_e32 v6, vcc, 4, v6
	v_add_u32_e32 v3, -1, v3
	v_addc_co_u32_e32 v7, vcc, 0, v7, vcc
	v_cmp_eq_u32_e32 vcc, 0, v3
	s_or_b64 s[10:11], vcc, s[10:11]
	s_waitcnt vmcnt(0)
	v_add_u32_e32 v5, 1, v5
	global_store_dword v[8:9], v5, off
	v_add_co_u32_e32 v8, vcc, 4, v8
	v_addc_co_u32_e32 v9, vcc, 0, v9, vcc
	s_andn2_b64 exec, exec, s[10:11]
	s_cbranch_execnz .LBB19_43
.LBB19_44:
	s_or_b64 exec, exec, s[2:3]
	s_movk_i32 s2, 0xff
	v_cmp_eq_u32_e64 s[2:3], s2, v0
	s_and_saveexec_b64 s[10:11], s[2:3]
	s_cbranch_execz .LBB19_46
; %bb.45:
	v_add_u32_e32 v2, v4, v2
	v_ashrrev_i32_e32 v3, 31, v2
	v_lshlrev_b64 v[4:5], 2, v[2:3]
	v_mov_b32_e32 v3, s9
	v_add_co_u32_e32 v4, vcc, s8, v4
	v_addc_co_u32_e32 v5, vcc, v3, v5, vcc
	v_mov_b32_e32 v3, s35
	global_store_dword v[4:5], v3, off
	v_mov_b32_e32 v3, 0
	global_store_dword v3, v3, s[8:9]
	global_store_dword v3, v2, s[46:47] offset:4
.LBB19_46:
	s_or_b64 exec, exec, s[10:11]
	v_cmp_gt_i32_e32 vcc, s33, v0
	v_bfrev_b32_e32 v6, -2
	v_pk_mov_b32 v[2:3], 0, 0
	s_barrier
	s_and_saveexec_b64 s[10:11], vcc
	s_cbranch_execz .LBB19_50
; %bb.47:
	s_add_i32 s8, s6, 2
	s_mul_i32 s8, s7, s8
	s_ashr_i32 s9, s8, 31
	s_lshl_b64 s[8:9], s[8:9], 3
	s_add_u32 s8, s26, s8
	s_addc_u32 s9, s27, s9
	v_mov_b32_e32 v2, s9
	v_add_co_u32_e32 v3, vcc, s8, v1
	v_addc_co_u32_e32 v2, vcc, 0, v2, vcc
	v_add_co_u32_e32 v4, vcc, 24, v3
	v_addc_co_u32_e32 v5, vcc, 0, v2, vcc
	s_mov_b64 s[16:17], 0
	v_bfrev_b32_e32 v6, -2
	v_pk_mov_b32 v[2:3], 0, 0
	s_brev_b32 s18, -2
	v_mov_b32_e32 v7, v0
.LBB19_48:                              ; =>This Inner Loop Header: Depth=1
	global_load_dwordx2 v[8:9], v[4:5], off
	v_add_co_u32_e32 v4, vcc, 0x800, v4
	v_cmp_eq_u32_e64 s[8:9], s18, v6
	v_add_u32_e32 v11, 1, v7
	v_add_u32_e32 v7, 0x100, v7
	v_addc_co_u32_e32 v5, vcc, 0, v5, vcc
	v_cmp_le_i32_e32 vcc, s33, v7
	s_waitcnt vmcnt(0)
	v_cmp_lt_f64_e64 s[50:51], v[2:3], |v[8:9]|
	v_and_b32_e32 v12, 0x7fffffff, v9
	s_or_b64 s[8:9], s[50:51], s[8:9]
	v_cndmask_b32_e64 v3, v3, v12, s[8:9]
	v_cndmask_b32_e64 v2, v2, v8, s[8:9]
	s_or_b64 s[16:17], vcc, s[16:17]
	v_cndmask_b32_e64 v6, v6, v11, s[8:9]
	s_andn2_b64 exec, exec, s[16:17]
	s_cbranch_execnz .LBB19_48
; %bb.49:
	s_or_b64 exec, exec, s[16:17]
.LBB19_50:
	s_or_b64 exec, exec, s[10:11]
	s_cmp_lt_i32 s35, 3
	ds_write_b64 v1, v[2:3]
	ds_write_b32 v10, v6
	s_waitcnt lgkmcnt(0)
	s_barrier
	s_cbranch_scc1 .LBB19_85
; %bb.51:
	s_movk_i32 s8, 0x80
	v_cmp_gt_u32_e32 vcc, s8, v0
	s_and_saveexec_b64 s[10:11], vcc
	s_cbranch_execz .LBB19_57
; %bb.52:
	ds_read_b64 v[4:5], v1 offset:1024
	ds_read_b32 v7, v10 offset:512
	s_waitcnt lgkmcnt(1)
	v_cmp_lt_f64_e64 s[16:17], v[2:3], v[4:5]
	v_cmp_nlt_f64_e32 vcc, v[2:3], v[4:5]
	s_and_saveexec_b64 s[18:19], vcc
	s_cbranch_execz .LBB19_54
; %bb.53:
	v_cmp_eq_f64_e32 vcc, v[2:3], v[4:5]
	s_waitcnt lgkmcnt(0)
	v_cmp_gt_i32_e64 s[8:9], v6, v7
	s_and_b64 s[8:9], vcc, s[8:9]
	s_andn2_b64 s[16:17], s[16:17], exec
	s_and_b64 s[8:9], s[8:9], exec
	s_or_b64 s[16:17], s[16:17], s[8:9]
.LBB19_54:
	s_or_b64 exec, exec, s[18:19]
	s_and_saveexec_b64 s[8:9], s[16:17]
	s_cbranch_execz .LBB19_56
; %bb.55:
	s_waitcnt lgkmcnt(0)
	v_mov_b32_e32 v6, v7
	v_pk_mov_b32 v[2:3], v[4:5], v[4:5] op_sel:[0,1]
	ds_write_b64 v1, v[4:5]
	ds_write_b32 v10, v7
.LBB19_56:
	s_or_b64 exec, exec, s[8:9]
.LBB19_57:
	s_or_b64 exec, exec, s[10:11]
	v_cmp_gt_u32_e32 vcc, 64, v0
	s_waitcnt lgkmcnt(0)
	s_barrier
	s_and_saveexec_b64 s[16:17], vcc
	s_cbranch_execz .LBB19_84
; %bb.58:
	ds_read_b64 v[4:5], v1 offset:512
	ds_read_b32 v7, v10 offset:256
	s_waitcnt lgkmcnt(1)
	v_cmp_lt_f64_e64 s[10:11], v[2:3], v[4:5]
	v_cmp_nlt_f64_e32 vcc, v[2:3], v[4:5]
	s_and_saveexec_b64 s[18:19], vcc
	s_cbranch_execz .LBB19_60
; %bb.59:
	v_cmp_eq_f64_e32 vcc, v[2:3], v[4:5]
	s_waitcnt lgkmcnt(0)
	v_cmp_gt_i32_e64 s[8:9], v6, v7
	s_and_b64 s[8:9], vcc, s[8:9]
	s_andn2_b64 s[10:11], s[10:11], exec
	s_and_b64 s[8:9], s[8:9], exec
	s_or_b64 s[10:11], s[10:11], s[8:9]
.LBB19_60:
	s_or_b64 exec, exec, s[18:19]
	s_and_saveexec_b64 s[8:9], s[10:11]
	s_cbranch_execz .LBB19_62
; %bb.61:
	v_pk_mov_b32 v[2:3], v[4:5], v[4:5] op_sel:[0,1]
	s_waitcnt lgkmcnt(0)
	v_mov_b32_e32 v6, v7
	ds_write_b64 v1, v[4:5]
	ds_write_b32 v10, v7
.LBB19_62:
	s_or_b64 exec, exec, s[8:9]
	ds_read_b64 v[4:5], v1 offset:256
	s_waitcnt lgkmcnt(1)
	ds_read_b32 v7, v10 offset:128
	s_waitcnt lgkmcnt(1)
	v_cmp_lt_f64_e64 s[10:11], v[2:3], v[4:5]
	v_cmp_nlt_f64_e32 vcc, v[2:3], v[4:5]
	s_and_saveexec_b64 s[18:19], vcc
	s_cbranch_execz .LBB19_64
; %bb.63:
	v_cmp_eq_f64_e32 vcc, v[2:3], v[4:5]
	s_waitcnt lgkmcnt(0)
	v_cmp_gt_i32_e64 s[8:9], v6, v7
	s_and_b64 s[8:9], vcc, s[8:9]
	s_andn2_b64 s[10:11], s[10:11], exec
	s_and_b64 s[8:9], s[8:9], exec
	s_or_b64 s[10:11], s[10:11], s[8:9]
.LBB19_64:
	s_or_b64 exec, exec, s[18:19]
	s_and_saveexec_b64 s[8:9], s[10:11]
	s_cbranch_execz .LBB19_66
; %bb.65:
	v_pk_mov_b32 v[2:3], v[4:5], v[4:5] op_sel:[0,1]
	s_waitcnt lgkmcnt(0)
	v_mov_b32_e32 v6, v7
	ds_write_b64 v1, v[4:5]
	ds_write_b32 v10, v7
.LBB19_66:
	s_or_b64 exec, exec, s[8:9]
	ds_read_b64 v[4:5], v1 offset:128
	s_waitcnt lgkmcnt(1)
	;; [unrolled: 28-line block ×6, first 2 shown]
	ds_read_b32 v7, v10 offset:4
	s_waitcnt lgkmcnt(1)
	v_cmp_eq_f64_e64 s[8:9], v[2:3], v[4:5]
	s_waitcnt lgkmcnt(0)
	v_cmp_gt_i32_e64 s[10:11], v6, v7
	v_cmp_lt_f64_e32 vcc, v[2:3], v[4:5]
	s_and_b64 s[8:9], s[8:9], s[10:11]
	s_or_b64 s[8:9], vcc, s[8:9]
	s_and_b64 exec, exec, s[8:9]
	s_cbranch_execz .LBB19_84
; %bb.83:
	ds_write_b64 v1, v[4:5]
	ds_write_b32 v10, v7
.LBB19_84:
	s_or_b64 exec, exec, s[16:17]
.LBB19_85:
	s_or_b32 s8, s6, 2
	s_mul_i32 s8, s8, s7
	v_mov_b32_e32 v1, 0
	s_ashr_i32 s9, s8, 31
	s_waitcnt lgkmcnt(0)
	s_barrier
	ds_read_b64 v[2:3], v1
	s_lshl_b64 s[8:9], s[8:9], 3
	s_add_u32 s16, s26, s8
	s_addc_u32 s17, s27, s9
	s_load_dwordx4 s[8:11], s[4:5], 0x8
	s_waitcnt lgkmcnt(0)
	v_mul_f64 v[2:3], v[2:3], s[30:31]
	v_mov_b32_e32 v1, s31
	v_cmp_gt_f64_e32 vcc, s[30:31], v[2:3]
	v_cndmask_b32_e32 v7, v3, v1, vcc
	v_mov_b32_e32 v1, s30
	v_cndmask_b32_e32 v6, v2, v1, vcc
	s_andn2_b64 vcc, exec, s[44:45]
	v_pk_mov_b32 v[4:5], s[10:11], s[10:11] op_sel:[0,1]
	v_pk_mov_b32 v[2:3], s[8:9], s[8:9] op_sel:[0,1]
	s_cbranch_vccz .LBB19_88
; %bb.86:
	s_and_saveexec_b64 s[2:3], s[0:1]
	s_cbranch_execnz .LBB19_138
.LBB19_87:
	s_endpgm
.LBB19_88:
	s_lshl_b64 s[44:45], s[14:15], 3
	s_add_u32 s18, s16, s44
	s_addc_u32 s19, s17, s45
	s_add_u32 s30, s18, s44
	s_addc_u32 s31, s19, s45
	;; [unrolled: 2-line block ×4, first 2 shown]
	s_lshl_b64 s[48:49], s[48:49], 3
	s_add_u32 s48, s20, s48
	s_addc_u32 s49, s21, s49
	s_lshl_b64 s[20:21], s[42:43], 3
	s_add_u32 s42, s12, s20
	s_addc_u32 s43, s13, s21
	v_pk_mov_b32 v[4:5], s[10:11], s[10:11] op_sel:[0,1]
	v_pk_mov_b32 v[2:3], s[8:9], s[8:9] op_sel:[0,1]
	s_and_saveexec_b64 s[10:11], s[0:1]
	s_cbranch_execz .LBB19_96
; %bb.89:
	v_mov_b32_e32 v1, 0
	global_load_dwordx2 v[4:5], v1, s[48:49]
	global_load_dwordx2 v[10:11], v1, s[42:43]
	s_cmp_gt_i32 s35, 1
	s_cselect_b64 s[50:51], -1, 0
	s_cmp_lt_i32 s35, 2
	s_waitcnt vmcnt(1)
	v_and_b32_e32 v9, 0x7fffffff, v5
	s_waitcnt vmcnt(0)
	v_add_f64 v[2:3], v[10:11], -|v[4:5]|
	v_add_f64 v[12:13], v[10:11], -v[2:3]
	v_cmp_le_f64_e32 vcc, v[12:13], v[6:7]
	v_cndmask_b32_e64 v8, 0, 1, vcc
	s_cbranch_scc1 .LBB19_92
; %bb.90:
	v_cmp_gt_f64_e64 s[8:9], v[12:13], -v[6:7]
	s_and_b64 vcc, vcc, s[8:9]
	s_add_i32 s8, s6, 2
	s_mul_i32 s8, s7, s8
	s_ashr_i32 s9, s8, 31
	s_lshl_b64 s[8:9], s[8:9], 3
	s_add_u32 s8, s8, s26
	s_addc_u32 s9, s9, s27
	s_add_u32 s52, s8, 24
	s_addc_u32 s53, s9, 0
	;; [unrolled: 2-line block ×3, first 2 shown]
	v_xor_b32_e32 v5, 0x80000000, v7
	s_add_u32 s54, s8, 8
	v_cndmask_b32_e32 v13, v13, v5, vcc
	v_cndmask_b32_e32 v12, v12, v6, vcc
	s_addc_u32 s55, s9, 0
	s_mov_b32 s56, s33
.LBB19_91:                              ; =>This Inner Loop Header: Depth=1
	global_load_dwordx2 v[14:15], v1, s[54:55]
	global_load_dwordx2 v[16:17], v1, s[52:53]
	s_add_i32 s56, s56, -1
	s_waitcnt vmcnt(1)
	v_add_f64 v[14:15], v[14:15], -v[2:3]
	s_waitcnt vmcnt(0)
	v_div_scale_f64 v[18:19], s[8:9], v[12:13], v[12:13], v[16:17]
	v_rcp_f64_e32 v[22:23], v[18:19]
	v_div_scale_f64 v[20:21], vcc, v[16:17], v[12:13], v[16:17]
	v_fma_f64 v[24:25], -v[18:19], v[22:23], 1.0
	v_fmac_f64_e32 v[22:23], v[22:23], v[24:25]
	v_fma_f64 v[24:25], -v[18:19], v[22:23], 1.0
	v_fmac_f64_e32 v[22:23], v[22:23], v[24:25]
	v_mul_f64 v[24:25], v[20:21], v[22:23]
	v_fma_f64 v[18:19], -v[18:19], v[24:25], v[20:21]
	v_div_fmas_f64 v[18:19], v[18:19], v[22:23], v[24:25]
	v_div_fixup_f64 v[12:13], v[18:19], v[12:13], v[16:17]
	v_add_f64 v[12:13], v[14:15], -v[12:13]
	v_cmp_gt_f64_e64 s[58:59], v[12:13], -v[6:7]
	v_cmp_le_f64_e32 vcc, v[12:13], v[6:7]
	v_addc_co_u32_e64 v8, s[8:9], 0, v8, vcc
	s_and_b64 vcc, vcc, s[58:59]
	s_add_u32 s52, s52, 8
	s_addc_u32 s53, s53, 0
	s_add_u32 s54, s54, 8
	s_addc_u32 s55, s55, 0
	v_cndmask_b32_e32 v13, v13, v5, vcc
	s_cmp_lg_u32 s56, 0
	v_cndmask_b32_e32 v12, v12, v6, vcc
	s_cbranch_scc1 .LBB19_91
.LBB19_92:
	v_mov_b32_e32 v5, v9
	v_add_f64 v[4:5], v[10:11], v[4:5]
	v_add_f64 v[10:11], v[10:11], -v[4:5]
	v_cmp_le_f64_e64 s[8:9], v[10:11], v[6:7]
	s_andn2_b64 vcc, exec, s[50:51]
	v_cndmask_b32_e64 v9, 0, 1, s[8:9]
	s_cbranch_vccnz .LBB19_95
; %bb.93:
	v_cmp_gt_f64_e64 s[50:51], v[10:11], -v[6:7]
	s_and_b64 vcc, s[8:9], s[50:51]
	s_add_i32 s8, s6, 2
	s_mul_i32 s8, s7, s8
	s_ashr_i32 s9, s8, 31
	s_lshl_b64 s[8:9], s[8:9], 3
	s_add_u32 s8, s8, s26
	s_addc_u32 s9, s9, s27
	s_add_u32 s50, s8, 24
	s_addc_u32 s51, s9, 0
	;; [unrolled: 2-line block ×3, first 2 shown]
	v_xor_b32_e32 v1, 0x80000000, v7
	s_add_u32 s52, s8, 8
	v_cndmask_b32_e32 v11, v11, v1, vcc
	v_cndmask_b32_e32 v10, v10, v6, vcc
	s_addc_u32 s53, s9, 0
	v_mov_b32_e32 v12, 0
	s_mov_b32 s54, s33
.LBB19_94:                              ; =>This Inner Loop Header: Depth=1
	global_load_dwordx2 v[14:15], v12, s[52:53]
	global_load_dwordx2 v[16:17], v12, s[50:51]
	s_add_i32 s54, s54, -1
	s_waitcnt vmcnt(1)
	v_add_f64 v[14:15], v[14:15], -v[4:5]
	s_waitcnt vmcnt(0)
	v_div_scale_f64 v[18:19], s[8:9], v[10:11], v[10:11], v[16:17]
	v_rcp_f64_e32 v[22:23], v[18:19]
	v_div_scale_f64 v[20:21], vcc, v[16:17], v[10:11], v[16:17]
	v_fma_f64 v[24:25], -v[18:19], v[22:23], 1.0
	v_fmac_f64_e32 v[22:23], v[22:23], v[24:25]
	v_fma_f64 v[24:25], -v[18:19], v[22:23], 1.0
	v_fmac_f64_e32 v[22:23], v[22:23], v[24:25]
	v_mul_f64 v[24:25], v[20:21], v[22:23]
	v_fma_f64 v[18:19], -v[18:19], v[24:25], v[20:21]
	v_div_fmas_f64 v[18:19], v[18:19], v[22:23], v[24:25]
	v_div_fixup_f64 v[10:11], v[18:19], v[10:11], v[16:17]
	v_add_f64 v[10:11], v[14:15], -v[10:11]
	v_cmp_gt_f64_e64 s[56:57], v[10:11], -v[6:7]
	v_cmp_le_f64_e32 vcc, v[10:11], v[6:7]
	v_addc_co_u32_e64 v9, s[8:9], 0, v9, vcc
	s_and_b64 vcc, vcc, s[56:57]
	s_add_u32 s50, s50, 8
	s_addc_u32 s51, s51, 0
	s_add_u32 s52, s52, 8
	s_addc_u32 s53, s53, 0
	v_cndmask_b32_e32 v11, v11, v1, vcc
	s_cmp_lg_u32 s54, 0
	v_cndmask_b32_e32 v10, v10, v6, vcc
	s_cbranch_scc1 .LBB19_94
.LBB19_95:
	v_mov_b32_e32 v1, 0
	global_store_dwordx4 v1, v[2:5], s[30:31]
	global_store_dwordx2 v1, v[8:9], s[46:47] offset:8
.LBB19_96:
	s_or_b64 exec, exec, s[10:11]
	s_add_u32 s60, s46, 8
	v_add_u32_e32 v0, 1, v0
	s_addc_u32 s61, s47, 0
	v_cmp_gt_i32_e32 vcc, s33, v0
	s_and_saveexec_b64 s[46:47], vcc
	s_cbranch_execz .LBB19_106
; %bb.97:
	s_cmp_gt_i32 s35, 1
	s_cselect_b64 s[8:9], -1, 0
	s_add_u32 s62, s30, 8
	s_addc_u32 s63, s31, 0
	s_add_i32 s10, s6, 2
	s_mul_i32 s10, s7, s10
	s_ashr_i32 s11, s10, 31
	s_lshl_b64 s[10:11], s[10:11], 3
	s_add_u32 s10, s10, s26
	s_addc_u32 s11, s11, s27
	s_add_u32 s50, s10, 24
	s_addc_u32 s51, s11, 0
	;; [unrolled: 2-line block ×3, first 2 shown]
	s_add_u32 s52, s10, 8
	v_cndmask_b32_e64 v2, 0, 1, s[8:9]
	s_addc_u32 s53, s11, 0
	s_mov_b64 s[54:55], 0
	v_mov_b32_e32 v1, 0
	v_mov_b32_e32 v16, s43
	;; [unrolled: 1-line block ×3, first 2 shown]
	v_cmp_ne_u32_e64 s[10:11], 1, v2
	v_xor_b32_e32 v18, 0x80000000, v7
	s_branch .LBB19_99
.LBB19_98:                              ;   in Loop: Header=BB19_99 Depth=1
	v_lshlrev_b32_e32 v10, 1, v0
	v_mov_b32_e32 v11, v1
	v_lshlrev_b64 v[12:13], 3, v[10:11]
	v_mov_b32_e32 v15, s31
	v_add_co_u32_e32 v14, vcc, s30, v12
	v_addc_co_u32_e32 v15, vcc, v15, v13, vcc
	v_lshlrev_b64 v[10:11], 2, v[10:11]
	global_store_dwordx2 v[14:15], v[2:3], off
	v_mov_b32_e32 v14, s61
	v_add_co_u32_e32 v10, vcc, s60, v10
	v_addc_co_u32_e32 v11, vcc, v14, v11, vcc
	v_mov_b32_e32 v14, s63
	v_add_co_u32_e32 v12, vcc, s62, v12
	v_addc_co_u32_e32 v13, vcc, v14, v13, vcc
	v_add_u32_e32 v0, 0x100, v0
	v_cmp_le_i32_e32 vcc, s33, v0
	s_or_b64 s[54:55], vcc, s[54:55]
	global_store_dwordx2 v[12:13], v[4:5], off
	global_store_dwordx2 v[10:11], v[8:9], off
	s_andn2_b64 exec, exec, s[54:55]
	s_cbranch_execz .LBB19_105
.LBB19_99:                              ; =>This Loop Header: Depth=1
                                        ;     Child Loop BB19_101 Depth 2
                                        ;     Child Loop BB19_104 Depth 2
	v_lshlrev_b64 v[2:3], 3, v[0:1]
	v_add_co_u32_e32 v4, vcc, s42, v2
	v_addc_co_u32_e32 v5, vcc, v16, v3, vcc
	v_add_co_u32_e32 v2, vcc, s48, v2
	v_addc_co_u32_e32 v3, vcc, v17, v3, vcc
	global_load_dwordx4 v[12:15], v[2:3], off offset:-8
	s_nop 0
	global_load_dwordx2 v[4:5], v[4:5], off
	s_nop 0
	global_load_dwordx2 v[10:11], v1, s[42:43]
	s_and_b64 vcc, exec, s[10:11]
	s_waitcnt vmcnt(2)
	v_add_f64 v[12:13], |v[14:15]|, |v[12:13]|
	s_waitcnt vmcnt(1)
	v_add_f64 v[2:3], v[4:5], -v[12:13]
	s_waitcnt vmcnt(0)
	v_add_f64 v[14:15], v[10:11], -v[2:3]
	v_cmp_le_f64_e64 s[8:9], v[14:15], v[6:7]
	v_cndmask_b32_e64 v8, 0, 1, s[8:9]
	s_cbranch_vccnz .LBB19_102
; %bb.100:                              ;   in Loop: Header=BB19_99 Depth=1
	v_cmp_gt_f64_e64 s[56:57], v[14:15], -v[6:7]
	s_and_b64 vcc, s[8:9], s[56:57]
	v_cndmask_b32_e32 v15, v15, v18, vcc
	v_cndmask_b32_e32 v14, v14, v6, vcc
	s_mov_b64 s[56:57], s[52:53]
	s_mov_b64 s[58:59], s[50:51]
	s_mov_b32 s64, s33
.LBB19_101:                             ;   Parent Loop BB19_99 Depth=1
                                        ; =>  This Inner Loop Header: Depth=2
	global_load_dwordx2 v[20:21], v1, s[56:57]
	global_load_dwordx2 v[22:23], v1, s[58:59]
	s_add_i32 s64, s64, -1
	s_waitcnt vmcnt(1)
	v_add_f64 v[20:21], v[20:21], -v[2:3]
	s_waitcnt vmcnt(0)
	v_div_scale_f64 v[24:25], s[8:9], v[14:15], v[14:15], v[22:23]
	v_rcp_f64_e32 v[28:29], v[24:25]
	v_div_scale_f64 v[26:27], vcc, v[22:23], v[14:15], v[22:23]
	v_fma_f64 v[30:31], -v[24:25], v[28:29], 1.0
	v_fmac_f64_e32 v[28:29], v[28:29], v[30:31]
	v_fma_f64 v[30:31], -v[24:25], v[28:29], 1.0
	v_fmac_f64_e32 v[28:29], v[28:29], v[30:31]
	v_mul_f64 v[30:31], v[26:27], v[28:29]
	v_fma_f64 v[24:25], -v[24:25], v[30:31], v[26:27]
	v_div_fmas_f64 v[24:25], v[24:25], v[28:29], v[30:31]
	v_div_fixup_f64 v[14:15], v[24:25], v[14:15], v[22:23]
	v_add_f64 v[14:15], v[20:21], -v[14:15]
	v_cmp_gt_f64_e64 s[66:67], v[14:15], -v[6:7]
	v_cmp_le_f64_e32 vcc, v[14:15], v[6:7]
	v_addc_co_u32_e64 v8, s[8:9], 0, v8, vcc
	s_and_b64 vcc, vcc, s[66:67]
	s_add_u32 s58, s58, 8
	s_addc_u32 s59, s59, 0
	s_add_u32 s56, s56, 8
	s_addc_u32 s57, s57, 0
	v_cndmask_b32_e32 v15, v15, v18, vcc
	s_cmp_lg_u32 s64, 0
	v_cndmask_b32_e32 v14, v14, v6, vcc
	s_cbranch_scc1 .LBB19_101
.LBB19_102:                             ;   in Loop: Header=BB19_99 Depth=1
	v_add_f64 v[4:5], v[4:5], v[12:13]
	v_add_f64 v[10:11], v[10:11], -v[4:5]
	v_cmp_le_f64_e64 s[8:9], v[10:11], v[6:7]
	s_and_b64 vcc, exec, s[10:11]
	v_cndmask_b32_e64 v9, 0, 1, s[8:9]
	s_cbranch_vccnz .LBB19_98
; %bb.103:                              ;   in Loop: Header=BB19_99 Depth=1
	v_cmp_gt_f64_e64 s[56:57], v[10:11], -v[6:7]
	s_and_b64 vcc, s[8:9], s[56:57]
	v_cndmask_b32_e32 v11, v11, v18, vcc
	v_cndmask_b32_e32 v10, v10, v6, vcc
	s_mov_b64 s[56:57], s[52:53]
	s_mov_b64 s[58:59], s[50:51]
	s_mov_b32 s64, s33
.LBB19_104:                             ;   Parent Loop BB19_99 Depth=1
                                        ; =>  This Inner Loop Header: Depth=2
	global_load_dwordx2 v[12:13], v1, s[56:57]
	global_load_dwordx2 v[14:15], v1, s[58:59]
	s_add_i32 s64, s64, -1
	s_waitcnt vmcnt(1)
	v_add_f64 v[12:13], v[12:13], -v[4:5]
	s_waitcnt vmcnt(0)
	v_div_scale_f64 v[20:21], s[8:9], v[10:11], v[10:11], v[14:15]
	v_rcp_f64_e32 v[24:25], v[20:21]
	v_div_scale_f64 v[22:23], vcc, v[14:15], v[10:11], v[14:15]
	v_fma_f64 v[26:27], -v[20:21], v[24:25], 1.0
	v_fmac_f64_e32 v[24:25], v[24:25], v[26:27]
	v_fma_f64 v[26:27], -v[20:21], v[24:25], 1.0
	v_fmac_f64_e32 v[24:25], v[24:25], v[26:27]
	v_mul_f64 v[26:27], v[22:23], v[24:25]
	v_fma_f64 v[20:21], -v[20:21], v[26:27], v[22:23]
	v_div_fmas_f64 v[20:21], v[20:21], v[24:25], v[26:27]
	v_div_fixup_f64 v[10:11], v[20:21], v[10:11], v[14:15]
	v_add_f64 v[10:11], v[12:13], -v[10:11]
	v_cmp_gt_f64_e64 s[66:67], v[10:11], -v[6:7]
	v_cmp_le_f64_e32 vcc, v[10:11], v[6:7]
	v_addc_co_u32_e64 v9, s[8:9], 0, v9, vcc
	s_and_b64 vcc, vcc, s[66:67]
	s_add_u32 s58, s58, 8
	s_addc_u32 s59, s59, 0
	s_add_u32 s56, s56, 8
	s_addc_u32 s57, s57, 0
	v_cndmask_b32_e32 v11, v11, v18, vcc
	s_cmp_lg_u32 s64, 0
	v_cndmask_b32_e32 v10, v10, v6, vcc
	s_cbranch_scc1 .LBB19_104
	s_branch .LBB19_98
.LBB19_105:
	s_or_b64 exec, exec, s[54:55]
.LBB19_106:
	s_or_b64 exec, exec, s[46:47]
	s_and_saveexec_b64 s[8:9], s[2:3]
	s_cbranch_execz .LBB19_114
; %bb.107:
	s_add_u32 s2, s42, s44
	s_addc_u32 s3, s43, s45
	s_add_u32 s10, s48, s44
	v_mov_b32_e32 v1, 0
	s_addc_u32 s11, s49, s45
	global_load_dwordx2 v[4:5], v1, s[10:11] offset:-16
	global_load_dwordx2 v[8:9], v1, s[2:3] offset:-8
	global_load_dwordx2 v[10:11], v1, s[42:43]
	s_cmp_gt_i32 s35, 1
	s_cselect_b64 s[10:11], -1, 0
	s_cmp_lt_i32 s35, 2
	s_waitcnt vmcnt(2)
	v_and_b32_e32 v14, 0x7fffffff, v5
	s_waitcnt vmcnt(1)
	v_add_f64 v[2:3], v[8:9], -|v[4:5]|
	s_waitcnt vmcnt(0)
	v_add_f64 v[12:13], v[10:11], -v[2:3]
	v_cmp_le_f64_e32 vcc, v[12:13], v[6:7]
	v_cndmask_b32_e64 v0, 0, 1, vcc
	s_cbranch_scc1 .LBB19_110
; %bb.108:
	v_cmp_gt_f64_e64 s[2:3], v[12:13], -v[6:7]
	s_and_b64 vcc, vcc, s[2:3]
	s_add_i32 s2, s6, 2
	s_mul_i32 s2, s7, s2
	s_ashr_i32 s3, s2, 31
	s_lshl_b64 s[2:3], s[2:3], 3
	s_add_u32 s2, s2, s26
	s_addc_u32 s3, s3, s27
	s_add_u32 s42, s2, 24
	s_addc_u32 s43, s3, 0
	;; [unrolled: 2-line block ×3, first 2 shown]
	v_xor_b32_e32 v5, 0x80000000, v7
	s_add_u32 s44, s2, 8
	v_cndmask_b32_e32 v13, v13, v5, vcc
	v_cndmask_b32_e32 v12, v12, v6, vcc
	s_addc_u32 s45, s3, 0
	s_mov_b32 s46, s33
.LBB19_109:                             ; =>This Inner Loop Header: Depth=1
	global_load_dwordx2 v[16:17], v1, s[44:45]
	global_load_dwordx2 v[18:19], v1, s[42:43]
	s_add_i32 s46, s46, -1
	s_waitcnt vmcnt(1)
	v_add_f64 v[16:17], v[16:17], -v[2:3]
	s_waitcnt vmcnt(0)
	v_div_scale_f64 v[20:21], s[2:3], v[12:13], v[12:13], v[18:19]
	v_rcp_f64_e32 v[24:25], v[20:21]
	v_div_scale_f64 v[22:23], vcc, v[18:19], v[12:13], v[18:19]
	v_fma_f64 v[26:27], -v[20:21], v[24:25], 1.0
	v_fmac_f64_e32 v[24:25], v[24:25], v[26:27]
	v_fma_f64 v[26:27], -v[20:21], v[24:25], 1.0
	v_fmac_f64_e32 v[24:25], v[24:25], v[26:27]
	v_mul_f64 v[26:27], v[22:23], v[24:25]
	v_fma_f64 v[20:21], -v[20:21], v[26:27], v[22:23]
	v_div_fmas_f64 v[20:21], v[20:21], v[24:25], v[26:27]
	v_div_fixup_f64 v[12:13], v[20:21], v[12:13], v[18:19]
	v_add_f64 v[12:13], v[16:17], -v[12:13]
	v_cmp_gt_f64_e64 s[48:49], v[12:13], -v[6:7]
	v_cmp_le_f64_e32 vcc, v[12:13], v[6:7]
	v_addc_co_u32_e64 v0, s[2:3], 0, v0, vcc
	s_and_b64 vcc, vcc, s[48:49]
	s_add_u32 s42, s42, 8
	s_addc_u32 s43, s43, 0
	s_add_u32 s44, s44, 8
	s_addc_u32 s45, s45, 0
	v_cndmask_b32_e32 v13, v13, v5, vcc
	s_cmp_lg_u32 s46, 0
	v_cndmask_b32_e32 v12, v12, v6, vcc
	s_cbranch_scc1 .LBB19_109
.LBB19_110:
	v_mov_b32_e32 v5, v14
	v_add_f64 v[4:5], v[8:9], v[4:5]
	v_add_f64 v[8:9], v[10:11], -v[4:5]
	v_cmp_le_f64_e64 s[2:3], v[8:9], v[6:7]
	s_andn2_b64 vcc, exec, s[10:11]
	v_cndmask_b32_e64 v1, 0, 1, s[2:3]
	s_cbranch_vccnz .LBB19_113
; %bb.111:
	v_cmp_gt_f64_e64 s[10:11], v[8:9], -v[6:7]
	s_and_b64 vcc, s[2:3], s[10:11]
	s_add_i32 s2, s6, 2
	s_mul_i32 s2, s7, s2
	s_ashr_i32 s3, s2, 31
	s_lshl_b64 s[2:3], s[2:3], 3
	s_add_u32 s2, s2, s26
	s_addc_u32 s3, s3, s27
	s_add_u32 s10, s2, 24
	s_addc_u32 s11, s3, 0
	;; [unrolled: 2-line block ×3, first 2 shown]
	v_xor_b32_e32 v10, 0x80000000, v7
	s_add_u32 s12, s2, 8
	v_cndmask_b32_e32 v9, v9, v10, vcc
	v_cndmask_b32_e32 v8, v8, v6, vcc
	s_addc_u32 s13, s3, 0
	v_mov_b32_e32 v11, 0
.LBB19_112:                             ; =>This Inner Loop Header: Depth=1
	global_load_dwordx2 v[12:13], v11, s[12:13]
	global_load_dwordx2 v[14:15], v11, s[10:11]
	s_add_i32 s33, s33, -1
	s_waitcnt vmcnt(1)
	v_add_f64 v[12:13], v[12:13], -v[4:5]
	s_waitcnt vmcnt(0)
	v_div_scale_f64 v[16:17], s[2:3], v[8:9], v[8:9], v[14:15]
	v_rcp_f64_e32 v[20:21], v[16:17]
	v_div_scale_f64 v[18:19], vcc, v[14:15], v[8:9], v[14:15]
	v_fma_f64 v[22:23], -v[16:17], v[20:21], 1.0
	v_fmac_f64_e32 v[20:21], v[20:21], v[22:23]
	v_fma_f64 v[22:23], -v[16:17], v[20:21], 1.0
	v_fmac_f64_e32 v[20:21], v[20:21], v[22:23]
	v_mul_f64 v[22:23], v[18:19], v[20:21]
	v_fma_f64 v[16:17], -v[16:17], v[22:23], v[18:19]
	v_div_fmas_f64 v[16:17], v[16:17], v[20:21], v[22:23]
	v_div_fixup_f64 v[8:9], v[16:17], v[8:9], v[14:15]
	v_add_f64 v[8:9], v[12:13], -v[8:9]
	v_cmp_gt_f64_e64 s[20:21], v[8:9], -v[6:7]
	v_cmp_le_f64_e32 vcc, v[8:9], v[6:7]
	v_addc_co_u32_e64 v1, s[2:3], 0, v1, vcc
	s_and_b64 vcc, vcc, s[20:21]
	s_add_u32 s10, s10, 8
	s_addc_u32 s11, s11, 0
	s_add_u32 s12, s12, 8
	s_addc_u32 s13, s13, 0
	v_cndmask_b32_e32 v9, v9, v10, vcc
	s_cmp_lg_u32 s33, 0
	v_cndmask_b32_e32 v8, v8, v6, vcc
	s_cbranch_scc1 .LBB19_112
.LBB19_113:
	s_lshl_b64 s[2:3], s[38:39], 3
	s_add_u32 s2, s30, s2
	s_addc_u32 s3, s31, s3
	v_mov_b32_e32 v8, 0
	s_add_u32 s10, s60, s40
	s_addc_u32 s11, s61, s41
	global_store_dwordx4 v8, v[2:5], s[2:3] offset:-16
	global_store_dwordx2 v8, v[0:1], s[10:11] offset:-8
.LBB19_114:
	s_or_b64 exec, exec, s[8:9]
	s_barrier
	s_and_saveexec_b64 s[8:9], s[0:1]
	s_cbranch_execz .LBB19_137
; %bb.115:
	s_cmp_gt_i32 s35, 0
	s_cselect_b64 s[10:11], -1, 0
	s_cmp_lt_i32 s35, 1
	s_mov_b32 s2, 1
	s_cbranch_scc1 .LBB19_122
; %bb.116:
	s_add_u32 s33, s30, -8
	s_addc_u32 s40, s31, -1
	s_add_u32 s41, s60, -4
	s_addc_u32 s42, s61, -1
	s_add_i32 s6, s6, 2
	s_mul_i32 s6, s7, s6
	s_ashr_i32 s7, s6, 31
	s_lshl_b64 s[12:13], s[14:15], 4
	s_lshl_b64 s[6:7], s[6:7], 3
	s_add_u32 s3, s12, s6
	s_addc_u32 s6, s13, s7
	s_add_u32 s3, s3, s26
	s_addc_u32 s7, s6, s27
	;; [unrolled: 2-line block ×3, first 2 shown]
	v_mov_b32_e32 v4, 0
	s_branch .LBB19_118
.LBB19_117:                             ;   in Loop: Header=BB19_118 Depth=1
	s_add_i32 s2, s2, 1
	s_add_u32 s6, s6, 8
	s_addc_u32 s7, s7, 0
	s_cmp_lg_u32 s2, s38
	s_cbranch_scc0 .LBB19_122
.LBB19_118:                             ; =>This Loop Header: Depth=1
                                        ;     Child Loop BB19_119 Depth 2
	s_ashr_i32 s3, s2, 31
	s_add_i32 s15, s2, -1
	s_lshl_b64 s[12:13], s[2:3], 3
	s_add_u32 s12, s33, s12
	s_addc_u32 s13, s40, s13
	global_load_dwordx2 v[0:1], v4, s[12:13]
	s_mov_b64 s[20:21], s[6:7]
	s_mov_b32 s26, s2
	s_mov_b32 s14, s15
	s_waitcnt vmcnt(0)
	v_pk_mov_b32 v[2:3], v[0:1], v[0:1] op_sel:[0,1]
.LBB19_119:                             ;   Parent Loop BB19_118 Depth=1
                                        ; =>  This Inner Loop Header: Depth=2
	global_load_dwordx2 v[8:9], v4, s[20:21]
	s_waitcnt vmcnt(0)
	v_cmp_lt_f64_e32 vcc, v[8:9], v[2:3]
	s_and_b64 s[44:45], vcc, exec
	s_cselect_b32 s14, s26, s14
	s_add_i32 s26, s26, 1
	s_add_u32 s20, s20, 8
	s_addc_u32 s21, s21, 0
	v_cndmask_b32_e32 v3, v3, v9, vcc
	s_cmp_ge_i32 s26, s38
	v_cndmask_b32_e32 v2, v2, v8, vcc
	s_cbranch_scc0 .LBB19_119
; %bb.120:                              ;   in Loop: Header=BB19_118 Depth=1
	s_cmp_lg_u32 s14, s15
	s_cbranch_scc0 .LBB19_117
; %bb.121:                              ;   in Loop: Header=BB19_118 Depth=1
	s_ashr_i32 s15, s14, 31
	s_lshl_b64 s[20:21], s[14:15], 3
	s_add_u32 s20, s30, s20
	s_addc_u32 s21, s31, s21
	s_lshl_b64 s[14:15], s[14:15], 2
	s_add_u32 s14, s60, s14
	s_addc_u32 s15, s61, s15
	;; [unrolled: 3-line block ×3, first 2 shown]
	global_load_dword v5, v4, s[26:27]
	global_load_dword v8, v4, s[14:15]
	s_nop 0
	global_store_dwordx2 v4, v[0:1], s[20:21]
	global_store_dwordx2 v4, v[2:3], s[12:13]
	s_waitcnt vmcnt(3)
	global_store_dword v4, v5, s[14:15]
	s_waitcnt vmcnt(3)
	global_store_dword v4, v8, s[26:27]
	s_branch .LBB19_117
.LBB19_122:
	s_lshl_b64 s[2:3], s[38:39], 3
	v_mov_b32_e32 v0, 0
	s_add_u32 s12, s18, s2
	s_addc_u32 s13, s19, s3
	global_load_dwordx2 v[2:3], v0, s[18:19] offset:-8
	global_load_dwordx2 v[4:5], v0, s[12:13] offset:-16
	s_load_dwordx2 s[6:7], s[4:5], 0x18
	v_cvt_f64_i32_e32 v[8:9], s35
	v_cndmask_b32_e64 v1, 0, 1, s[10:11]
	v_cmp_ne_u32_e64 s[2:3], 1, v1
	s_andn2_b64 vcc, exec, s[10:11]
	s_waitcnt vmcnt(0)
	v_cmp_lt_f64_e64 s[4:5], |v[2:3]|, |v[4:5]|
	v_cndmask_b32_e64 v11, v3, v5, s[4:5]
	v_cndmask_b32_e64 v10, v2, v4, s[4:5]
	v_mul_f64 v[10:11], |v[10:11]|, s[28:29]
	v_fma_f64 v[2:3], -v[10:11], v[8:9], v[2:3]
	v_fmac_f64_e32 v[4:5], v[10:11], v[8:9]
	v_add_f64 v[2:3], v[2:3], -v[6:7]
	v_add_f64 v[4:5], v[6:7], v[4:5]
	global_store_dwordx2 v0, v[2:3], s[18:19] offset:-8
	global_store_dwordx2 v0, v[4:5], s[12:13] offset:-16
	s_cbranch_vccnz .LBB19_128
; %bb.123:
	s_max_i32 s11, s38, 2
	s_add_i32 s11, s11, -1
	s_add_u32 s4, s36, s22
	s_addc_u32 s5, s37, s23
	s_add_u32 s4, s4, s24
	s_addc_u32 s5, s5, s25
	;; [unrolled: 2-line block ×3, first 2 shown]
	s_mov_b32 s14, 0
	s_branch .LBB19_125
.LBB19_124:                             ;   in Loop: Header=BB19_125 Depth=1
	s_add_i32 s14, s14, 1
	s_add_u32 s4, s4, 4
	s_addc_u32 s5, s5, 0
	s_cmp_eq_u32 s11, s14
	s_cselect_b64 s[12:13], -1, 0
	s_mov_b32 s10, s11
	s_andn2_b64 vcc, exec, s[12:13]
	s_cbranch_vccz .LBB19_127
.LBB19_125:                             ; =>This Inner Loop Header: Depth=1
	global_load_dword v1, v0, s[4:5]
	s_mov_b64 s[12:13], -1
	s_waitcnt vmcnt(0) lgkmcnt(0)
	v_cmp_le_i32_e32 vcc, s6, v1
	s_cbranch_vccz .LBB19_124
; %bb.126:                              ;   in Loop: Header=BB19_125 Depth=1
                                        ; implicit-def: $sgpr4_sgpr5
	s_mov_b32 s10, s14
	s_andn2_b64 vcc, exec, s[12:13]
	s_cbranch_vccnz .LBB19_125
.LBB19_127:
	s_mov_b32 s11, 0
	s_branch .LBB19_129
.LBB19_128:
	s_mov_b64 s[10:11], 0
.LBB19_129:
	s_lshl_b64 s[4:5], s[10:11], 3
	s_add_u32 s4, s18, s4
	s_addc_u32 s5, s19, s5
	v_mov_b32_e32 v0, 0
	global_load_dwordx2 v[2:3], v0, s[4:5] offset:-8
	s_and_b64 vcc, exec, s[2:3]
	s_mov_b32 s5, 1
	s_cbranch_vccnz .LBB19_135
; %bb.130:
	s_waitcnt lgkmcnt(0)
	s_max_i32 s6, s38, 2
	s_add_i32 s12, s6, -1
	s_add_u32 s2, s36, s22
	s_addc_u32 s3, s37, s23
	s_add_u32 s2, s2, s24
	s_addc_u32 s3, s3, s25
	;; [unrolled: 2-line block ×3, first 2 shown]
	s_branch .LBB19_132
.LBB19_131:                             ;   in Loop: Header=BB19_132 Depth=1
	s_mov_b32 s4, s5
                                        ; implicit-def: $sgpr2_sgpr3
	s_andn2_b64 vcc, exec, s[10:11]
	s_cbranch_vccz .LBB19_134
.LBB19_132:                             ; =>This Inner Loop Header: Depth=1
	global_load_dword v1, v0, s[2:3]
	s_mov_b64 s[10:11], -1
	s_waitcnt vmcnt(0)
	v_cmp_gt_i32_e32 vcc, s7, v1
	s_cbranch_vccz .LBB19_131
; %bb.133:                              ;   in Loop: Header=BB19_132 Depth=1
	s_add_i32 s5, s5, 1
	s_add_u32 s2, s2, 4
	s_addc_u32 s3, s3, 0
	s_cmp_eq_u32 s6, s5
	s_cselect_b64 s[10:11], -1, 0
	s_mov_b32 s4, s12
	s_andn2_b64 vcc, exec, s[10:11]
	s_cbranch_vccnz .LBB19_132
.LBB19_134:
	s_ashr_i32 s5, s4, 31
	s_branch .LBB19_136
.LBB19_135:
	s_mov_b64 s[4:5], 0
.LBB19_136:
	s_lshl_b64 s[2:3], s[4:5], 3
	s_add_u32 s2, s18, s2
	s_addc_u32 s3, s19, s3
	v_mov_b32_e32 v0, 0
	global_load_dwordx2 v[4:5], v0, s[2:3] offset:-8
.LBB19_137:
	s_or_b64 exec, exec, s[8:9]
	s_and_saveexec_b64 s[2:3], s[0:1]
	s_cbranch_execz .LBB19_87
.LBB19_138:
	s_cmpk_eq_i32 s34, 0xe7
	s_cselect_b64 s[0:1], -1, 0
	v_mov_b32_e32 v0, 0
	s_waitcnt vmcnt(0)
	v_cndmask_b32_e64 v5, v5, 0, s[0:1]
	v_cndmask_b32_e64 v4, v4, 0, s[0:1]
	;; [unrolled: 1-line block ×4, first 2 shown]
	global_store_dwordx2 v0, v[6:7], s[16:17] offset:16
	global_store_dwordx4 v0, v[2:5], s[16:17]
	s_endpgm
	.section	.rodata,"a",@progbits
	.p2align	6, 0x0
	.amdhsa_kernel _ZN9rocsolver6v33100L19stedcx_split_kernelIdEEv15rocblas_erange_iT_S3_iiPS3_lS4_lS4_lPiS4_S3_S3_
		.amdhsa_group_segment_fixed_size 3072
		.amdhsa_private_segment_fixed_size 0
		.amdhsa_kernarg_size 368
		.amdhsa_user_sgpr_count 6
		.amdhsa_user_sgpr_private_segment_buffer 1
		.amdhsa_user_sgpr_dispatch_ptr 0
		.amdhsa_user_sgpr_queue_ptr 0
		.amdhsa_user_sgpr_kernarg_segment_ptr 1
		.amdhsa_user_sgpr_dispatch_id 0
		.amdhsa_user_sgpr_flat_scratch_init 0
		.amdhsa_user_sgpr_kernarg_preload_length 0
		.amdhsa_user_sgpr_kernarg_preload_offset 0
		.amdhsa_user_sgpr_private_segment_size 0
		.amdhsa_uses_dynamic_stack 0
		.amdhsa_system_sgpr_private_segment_wavefront_offset 0
		.amdhsa_system_sgpr_workgroup_id_x 1
		.amdhsa_system_sgpr_workgroup_id_y 1
		.amdhsa_system_sgpr_workgroup_id_z 0
		.amdhsa_system_sgpr_workgroup_info 0
		.amdhsa_system_vgpr_workitem_id 0
		.amdhsa_next_free_vgpr 48
		.amdhsa_next_free_sgpr 68
		.amdhsa_accum_offset 48
		.amdhsa_reserve_vcc 1
		.amdhsa_reserve_flat_scratch 0
		.amdhsa_float_round_mode_32 0
		.amdhsa_float_round_mode_16_64 0
		.amdhsa_float_denorm_mode_32 3
		.amdhsa_float_denorm_mode_16_64 3
		.amdhsa_dx10_clamp 1
		.amdhsa_ieee_mode 1
		.amdhsa_fp16_overflow 0
		.amdhsa_tg_split 0
		.amdhsa_exception_fp_ieee_invalid_op 0
		.amdhsa_exception_fp_denorm_src 0
		.amdhsa_exception_fp_ieee_div_zero 0
		.amdhsa_exception_fp_ieee_overflow 0
		.amdhsa_exception_fp_ieee_underflow 0
		.amdhsa_exception_fp_ieee_inexact 0
		.amdhsa_exception_int_div_zero 0
	.end_amdhsa_kernel
	.section	.text._ZN9rocsolver6v33100L19stedcx_split_kernelIdEEv15rocblas_erange_iT_S3_iiPS3_lS4_lS4_lPiS4_S3_S3_,"axG",@progbits,_ZN9rocsolver6v33100L19stedcx_split_kernelIdEEv15rocblas_erange_iT_S3_iiPS3_lS4_lS4_lPiS4_S3_S3_,comdat
.Lfunc_end19:
	.size	_ZN9rocsolver6v33100L19stedcx_split_kernelIdEEv15rocblas_erange_iT_S3_iiPS3_lS4_lS4_lPiS4_S3_S3_, .Lfunc_end19-_ZN9rocsolver6v33100L19stedcx_split_kernelIdEEv15rocblas_erange_iT_S3_iiPS3_lS4_lS4_lPiS4_S3_S3_
                                        ; -- End function
	.section	.AMDGPU.csdata,"",@progbits
; Kernel info:
; codeLenInByte = 6948
; NumSgprs: 72
; NumVgprs: 48
; NumAgprs: 0
; TotalNumVgprs: 48
; ScratchSize: 0
; MemoryBound: 0
; FloatMode: 240
; IeeeMode: 1
; LDSByteSize: 3072 bytes/workgroup (compile time only)
; SGPRBlocks: 8
; VGPRBlocks: 5
; NumSGPRsForWavesPerEU: 72
; NumVGPRsForWavesPerEU: 48
; AccumOffset: 48
; Occupancy: 8
; WaveLimiterHint : 0
; COMPUTE_PGM_RSRC2:SCRATCH_EN: 0
; COMPUTE_PGM_RSRC2:USER_SGPR: 6
; COMPUTE_PGM_RSRC2:TRAP_HANDLER: 0
; COMPUTE_PGM_RSRC2:TGID_X_EN: 1
; COMPUTE_PGM_RSRC2:TGID_Y_EN: 1
; COMPUTE_PGM_RSRC2:TGID_Z_EN: 0
; COMPUTE_PGM_RSRC2:TIDIG_COMP_CNT: 0
; COMPUTE_PGM_RSRC3_GFX90A:ACCUM_OFFSET: 11
; COMPUTE_PGM_RSRC3_GFX90A:TG_SPLIT: 0
	.section	.text._ZN9rocsolver6v33100L20stedcx_divide_kernelIdEEviPT_lS3_lPi,"axG",@progbits,_ZN9rocsolver6v33100L20stedcx_divide_kernelIdEEviPT_lS3_lPi,comdat
	.globl	_ZN9rocsolver6v33100L20stedcx_divide_kernelIdEEviPT_lS3_lPi ; -- Begin function _ZN9rocsolver6v33100L20stedcx_divide_kernelIdEEviPT_lS3_lPi
	.p2align	8
	.type	_ZN9rocsolver6v33100L20stedcx_divide_kernelIdEEviPT_lS3_lPi,@function
_ZN9rocsolver6v33100L20stedcx_divide_kernelIdEEviPT_lS3_lPi: ; @_ZN9rocsolver6v33100L20stedcx_divide_kernelIdEEviPT_lS3_lPi
; %bb.0:
	s_load_dword s8, s[4:5], 0x0
	s_load_dwordx2 s[0:1], s[4:5], 0x28
	s_waitcnt lgkmcnt(0)
	s_mul_i32 s2, s8, 5
	s_add_i32 s2, s2, 2
	s_mul_i32 s2, s2, s6
	s_ashr_i32 s3, s2, 31
	s_ashr_i32 s9, s8, 31
	s_lshl_b64 s[10:11], s[2:3], 2
	s_add_u32 s14, s0, s10
	s_addc_u32 s7, s1, s11
	s_lshl_b64 s[12:13], s[8:9], 2
	s_add_u32 s2, s14, s12
	s_addc_u32 s3, s7, s13
	s_load_dword s15, s[2:3], 0x4
	s_waitcnt lgkmcnt(0)
	v_cmp_gt_i32_e32 vcc, s15, v0
	s_and_saveexec_b64 s[16:17], vcc
	s_cbranch_execz .LBB20_19
; %bb.1:
	s_load_dwordx8 s[16:23], s[4:5], 0x8
	s_ashr_i32 s24, s6, 31
	v_mov_b32_e32 v1, 0
	v_mov_b32_e32 v10, s7
	s_movk_i32 s26, 0x79b
	s_waitcnt lgkmcnt(0)
	s_mul_i32 s5, s6, s19
	s_mul_hi_u32 s19, s6, s18
	s_mul_i32 s25, s24, s18
	s_add_i32 s5, s19, s5
	s_mul_i32 s4, s6, s18
	s_add_i32 s5, s5, s25
	s_lshl_b64 s[4:5], s[4:5], 3
	s_add_u32 s16, s16, s4
	s_addc_u32 s17, s17, s5
	s_mul_i32 s4, s6, s23
	s_mul_hi_u32 s5, s6, s22
	s_add_i32 s4, s5, s4
	s_mul_i32 s24, s24, s22
	s_add_i32 s5, s4, s24
	s_mul_i32 s4, s6, s22
	s_lshl_b64 s[4:5], s[4:5], 3
	s_add_u32 s4, s20, s4
	s_addc_u32 s5, s21, s5
	s_add_u32 s18, s2, s12
	s_addc_u32 s6, s3, s13
	s_add_u32 s19, s4, -8
	s_addc_u32 s20, s5, -1
	s_add_u32 s4, s12, s10
	s_addc_u32 s5, s13, s11
	s_add_u32 s4, s4, s0
	s_addc_u32 s5, s5, s1
	;; [unrolled: 2-line block ×3, first 2 shown]
	s_lshl_b64 s[4:5], s[8:9], 3
	s_add_u32 s4, s4, s10
	s_addc_u32 s5, s5, s11
	s_add_u32 s0, s4, s0
	s_addc_u32 s1, s5, s1
	;; [unrolled: 2-line block ×3, first 2 shown]
	s_mov_b64 s[4:5], 0
	s_movk_i32 s25, 0xe8
	s_movk_i32 s27, 0x128
	v_mov_b32_e32 v11, s3
	s_mov_b32 s7, 0
	v_mov_b32_e32 v12, s6
	s_branch .LBB20_3
.LBB20_2:                               ;   in Loop: Header=BB20_3 Depth=1
	s_or_b64 exec, exec, s[0:1]
	v_add_u32_e32 v0, 0x200, v0
	v_cmp_le_i32_e32 vcc, s15, v0
	s_or_b64 s[4:5], vcc, s[4:5]
	s_andn2_b64 exec, exec, s[4:5]
	s_cbranch_execz .LBB20_19
.LBB20_3:                               ; =>This Loop Header: Depth=1
                                        ;     Child Loop BB20_13 Depth 2
                                        ;       Child Loop BB20_14 Depth 3
                                        ;     Child Loop BB20_18 Depth 2
	v_lshlrev_b64 v[2:3], 2, v[0:1]
	v_add_co_u32_e32 v2, vcc, s14, v2
	v_addc_co_u32_e32 v3, vcc, v10, v3, vcc
	global_load_dwordx2 v[2:3], v[2:3], off
	v_mov_b32_e32 v13, 0
	s_waitcnt vmcnt(0)
	v_sub_u32_e32 v8, v3, v2
	v_cmp_lt_i32_e32 vcc, 2, v8
	s_and_saveexec_b64 s[0:1], vcc
	s_cbranch_execz .LBB20_11
; %bb.4:                                ;   in Loop: Header=BB20_3 Depth=1
	v_cmp_lt_u32_e32 vcc, 4, v8
	v_mov_b32_e32 v13, 1
	s_and_saveexec_b64 s[8:9], vcc
	s_cbranch_execz .LBB20_10
; %bb.5:                                ;   in Loop: Header=BB20_3 Depth=1
	v_cmp_lt_u32_e32 vcc, 32, v8
	v_mov_b32_e32 v13, 2
	;; [unrolled: 5-line block ×3, first 2 shown]
	s_and_saveexec_b64 s[12:13], vcc
; %bb.7:                                ;   in Loop: Header=BB20_3 Depth=1
	v_cmp_gt_u32_e32 vcc, s27, v8
	v_cndmask_b32_e64 v3, 7, 5, vcc
	v_cmp_gt_u32_e32 vcc, s26, v8
	v_cndmask_b32_e32 v13, 8, v3, vcc
; %bb.8:                                ;   in Loop: Header=BB20_3 Depth=1
	s_or_b64 exec, exec, s[12:13]
.LBB20_9:                               ;   in Loop: Header=BB20_3 Depth=1
	s_or_b64 exec, exec, s[10:11]
.LBB20_10:                              ;   in Loop: Header=BB20_3 Depth=1
	s_or_b64 exec, exec, s[8:9]
.LBB20_11:                              ;   in Loop: Header=BB20_3 Depth=1
	s_or_b64 exec, exec, s[0:1]
	v_ashrrev_i32_e32 v3, 31, v2
	v_lshlrev_b64 v[6:7], 2, v[2:3]
	v_add_co_u32_e32 v14, vcc, s2, v6
	v_addc_co_u32_e32 v15, vcc, v11, v7, vcc
	v_add_co_u32_e32 v4, vcc, 8, v14
	v_addc_co_u32_e32 v5, vcc, 0, v15, vcc
	v_cmp_ne_u32_e32 vcc, 0, v13
	global_store_dword v[14:15], v8, off offset:8
	s_and_saveexec_b64 s[8:9], vcc
	s_cbranch_execz .LBB20_16
; %bb.12:                               ;   in Loop: Header=BB20_3 Depth=1
	v_mov_b32_e32 v8, s22
	v_add_co_u32_e64 v3, s[0:1], s21, v6
	v_addc_co_u32_e64 v14, s[0:1], v8, v7, s[0:1]
	s_mov_b32 s3, 0
	s_mov_b64 s[10:11], 0
.LBB20_13:                              ;   Parent Loop BB20_3 Depth=1
                                        ; =>  This Loop Header: Depth=2
                                        ;       Child Loop BB20_14 Depth 3
	s_lshl_b32 s6, 1, s3
	s_lshl_b64 s[0:1], s[6:7], 2
	v_mov_b32_e32 v9, s1
	v_add_co_u32_e64 v8, s[0:1], s0, v3
	s_add_i32 s12, s6, 1
	v_addc_co_u32_e64 v9, s[0:1], v14, v9, s[0:1]
	s_lshl_b32 s6, s6, 1
.LBB20_14:                              ;   Parent Loop BB20_3 Depth=1
                                        ;     Parent Loop BB20_13 Depth=2
                                        ; =>    This Inner Loop Header: Depth=3
	global_load_dword v15, v[8:9], off
	v_add_co_u32_e64 v8, s[0:1], -4, v8
	s_lshl_b64 s[28:29], s[6:7], 2
	v_addc_co_u32_e64 v9, s[0:1], -1, v9, s[0:1]
	v_mov_b32_e32 v17, s29
	v_add_co_u32_e64 v16, s[0:1], s28, v4
	v_addc_co_u32_e64 v17, s[0:1], v5, v17, s[0:1]
	s_add_i32 s12, s12, -1
	s_add_i32 s6, s6, -2
	s_cmp_lt_i32 s12, 2
	s_waitcnt vmcnt(0)
	v_lshrrev_b32_e32 v18, 31, v15
	v_add_u32_e32 v19, v15, v18
	v_ashrrev_i32_e32 v18, 1, v19
	v_and_b32_e32 v19, -2, v19
	v_cmp_lt_i32_e64 s[0:1], v19, v15
	v_addc_co_u32_e64 v19, s[0:1], 0, v18, s[0:1]
	global_store_dwordx2 v[16:17], v[18:19], off offset:-8
	s_cbranch_scc0 .LBB20_14
; %bb.15:                               ;   in Loop: Header=BB20_13 Depth=2
	s_add_i32 s3, s3, 1
	v_cmp_eq_u32_e64 s[0:1], s3, v13
	s_or_b64 s[10:11], s[0:1], s[10:11]
	s_andn2_b64 exec, exec, s[10:11]
	s_cbranch_execnz .LBB20_13
.LBB20_16:                              ;   in Loop: Header=BB20_3 Depth=1
	s_or_b64 exec, exec, s[8:9]
	v_add_co_u32_e64 v8, s[0:1], s18, v6
	v_addc_co_u32_e64 v9, s[0:1], v12, v7, s[0:1]
	global_store_dword v[8:9], v2, off offset:8
	s_and_saveexec_b64 s[0:1], vcc
	s_cbranch_execz .LBB20_2
; %bb.17:                               ;   in Loop: Header=BB20_3 Depth=1
	v_mov_b32_e32 v3, s24
	v_add_co_u32_e32 v6, vcc, s23, v6
	s_mov_b32 s3, 2
	v_addc_co_u32_e32 v7, vcc, v3, v7, vcc
	s_mov_b64 s[8:9], 0
.LBB20_18:                              ;   Parent Loop BB20_3 Depth=1
                                        ; =>  This Inner Loop Header: Depth=2
	global_load_dword v3, v[4:5], off
	v_mov_b32_e32 v14, s20
	v_mov_b32_e32 v15, s17
	s_waitcnt vmcnt(0)
	v_add_u32_e32 v2, v3, v2
	v_ashrrev_i32_e32 v3, 31, v2
	v_lshlrev_b64 v[8:9], 3, v[2:3]
	v_add_co_u32_e32 v18, vcc, s19, v8
	v_addc_co_u32_e32 v19, vcc, v14, v9, vcc
	v_add_co_u32_e32 v8, vcc, s16, v8
	v_addc_co_u32_e32 v9, vcc, v15, v9, vcc
	global_load_dwordx2 v[20:21], v[18:19], off
	global_load_dwordx4 v[14:17], v[8:9], off offset:-8
	v_add_co_u32_e32 v4, vcc, 4, v4
	v_lshrrev_b32_e64 v3, v13, s3
	v_addc_co_u32_e32 v5, vcc, 0, v5, vcc
	s_add_i32 s3, s3, 1
	v_cmp_ne_u32_e32 vcc, 0, v3
	s_or_b64 s[8:9], vcc, s[8:9]
	global_store_dword v[6:7], v2, off
	v_add_co_u32_e32 v6, vcc, 4, v6
	v_addc_co_u32_e32 v7, vcc, 0, v7, vcc
	s_waitcnt vmcnt(1)
	v_add_f64 v[16:17], v[16:17], -v[20:21]
	v_add_f64 v[14:15], v[14:15], -v[20:21]
	global_store_dwordx4 v[8:9], v[14:17], off offset:-8
	s_andn2_b64 exec, exec, s[8:9]
	s_cbranch_execnz .LBB20_18
	s_branch .LBB20_2
.LBB20_19:
	s_endpgm
	.section	.rodata,"a",@progbits
	.p2align	6, 0x0
	.amdhsa_kernel _ZN9rocsolver6v33100L20stedcx_divide_kernelIdEEviPT_lS3_lPi
		.amdhsa_group_segment_fixed_size 0
		.amdhsa_private_segment_fixed_size 0
		.amdhsa_kernarg_size 48
		.amdhsa_user_sgpr_count 6
		.amdhsa_user_sgpr_private_segment_buffer 1
		.amdhsa_user_sgpr_dispatch_ptr 0
		.amdhsa_user_sgpr_queue_ptr 0
		.amdhsa_user_sgpr_kernarg_segment_ptr 1
		.amdhsa_user_sgpr_dispatch_id 0
		.amdhsa_user_sgpr_flat_scratch_init 0
		.amdhsa_user_sgpr_kernarg_preload_length 0
		.amdhsa_user_sgpr_kernarg_preload_offset 0
		.amdhsa_user_sgpr_private_segment_size 0
		.amdhsa_uses_dynamic_stack 0
		.amdhsa_system_sgpr_private_segment_wavefront_offset 0
		.amdhsa_system_sgpr_workgroup_id_x 1
		.amdhsa_system_sgpr_workgroup_id_y 0
		.amdhsa_system_sgpr_workgroup_id_z 0
		.amdhsa_system_sgpr_workgroup_info 0
		.amdhsa_system_vgpr_workitem_id 0
		.amdhsa_next_free_vgpr 22
		.amdhsa_next_free_sgpr 30
		.amdhsa_accum_offset 24
		.amdhsa_reserve_vcc 1
		.amdhsa_reserve_flat_scratch 0
		.amdhsa_float_round_mode_32 0
		.amdhsa_float_round_mode_16_64 0
		.amdhsa_float_denorm_mode_32 3
		.amdhsa_float_denorm_mode_16_64 3
		.amdhsa_dx10_clamp 1
		.amdhsa_ieee_mode 1
		.amdhsa_fp16_overflow 0
		.amdhsa_tg_split 0
		.amdhsa_exception_fp_ieee_invalid_op 0
		.amdhsa_exception_fp_denorm_src 0
		.amdhsa_exception_fp_ieee_div_zero 0
		.amdhsa_exception_fp_ieee_overflow 0
		.amdhsa_exception_fp_ieee_underflow 0
		.amdhsa_exception_fp_ieee_inexact 0
		.amdhsa_exception_int_div_zero 0
	.end_amdhsa_kernel
	.section	.text._ZN9rocsolver6v33100L20stedcx_divide_kernelIdEEviPT_lS3_lPi,"axG",@progbits,_ZN9rocsolver6v33100L20stedcx_divide_kernelIdEEviPT_lS3_lPi,comdat
.Lfunc_end20:
	.size	_ZN9rocsolver6v33100L20stedcx_divide_kernelIdEEviPT_lS3_lPi, .Lfunc_end20-_ZN9rocsolver6v33100L20stedcx_divide_kernelIdEEviPT_lS3_lPi
                                        ; -- End function
	.section	.AMDGPU.csdata,"",@progbits
; Kernel info:
; codeLenInByte = 896
; NumSgprs: 34
; NumVgprs: 22
; NumAgprs: 0
; TotalNumVgprs: 22
; ScratchSize: 0
; MemoryBound: 0
; FloatMode: 240
; IeeeMode: 1
; LDSByteSize: 0 bytes/workgroup (compile time only)
; SGPRBlocks: 4
; VGPRBlocks: 2
; NumSGPRsForWavesPerEU: 34
; NumVGPRsForWavesPerEU: 22
; AccumOffset: 24
; Occupancy: 8
; WaveLimiterHint : 1
; COMPUTE_PGM_RSRC2:SCRATCH_EN: 0
; COMPUTE_PGM_RSRC2:USER_SGPR: 6
; COMPUTE_PGM_RSRC2:TRAP_HANDLER: 0
; COMPUTE_PGM_RSRC2:TGID_X_EN: 1
; COMPUTE_PGM_RSRC2:TGID_Y_EN: 0
; COMPUTE_PGM_RSRC2:TGID_Z_EN: 0
; COMPUTE_PGM_RSRC2:TIDIG_COMP_CNT: 0
; COMPUTE_PGM_RSRC3_GFX90A:ACCUM_OFFSET: 5
; COMPUTE_PGM_RSRC3_GFX90A:TG_SPLIT: 0
	.section	.text._ZN9rocsolver6v33100L19stedcx_solve_kernelIdEEviPT_lS3_lS3_iilPiS3_S4_S2_S2_S2_,"axG",@progbits,_ZN9rocsolver6v33100L19stedcx_solve_kernelIdEEviPT_lS3_lS3_iilPiS3_S4_S2_S2_S2_,comdat
	.globl	_ZN9rocsolver6v33100L19stedcx_solve_kernelIdEEviPT_lS3_lS3_iilPiS3_S4_S2_S2_S2_ ; -- Begin function _ZN9rocsolver6v33100L19stedcx_solve_kernelIdEEviPT_lS3_lS3_iilPiS3_S4_S2_S2_S2_
	.p2align	8
	.type	_ZN9rocsolver6v33100L19stedcx_solve_kernelIdEEviPT_lS3_lS3_iilPiS3_S4_S2_S2_S2_,@function
_ZN9rocsolver6v33100L19stedcx_solve_kernelIdEEviPT_lS3_lS3_iilPiS3_S4_S2_S2_S2_: ; @_ZN9rocsolver6v33100L19stedcx_solve_kernelIdEEviPT_lS3_lS3_iilPiS3_S4_S2_S2_S2_
; %bb.0:
	s_load_dwordx4 s[20:23], s[4:5], 0x28
	s_load_dwordx8 s[12:19], s[4:5], 0x38
	s_load_dwordx2 s[28:29], s[4:5], 0x68
	s_load_dwordx4 s[24:27], s[4:5], 0x58
	s_mov_b32 s10, s7
	s_waitcnt lgkmcnt(0)
	s_cmp_lg_u64 s[20:21], 0
	s_mov_b64 s[0:1], 0
                                        ; implicit-def: $vgpr72 : SGPR spill to VGPR lane
	s_cbranch_scc0 .LBB21_245
; %bb.1:
	s_ashr_i32 s9, s8, 31
	s_mul_i32 s7, s8, s13
	s_mul_hi_u32 s11, s8, s12
	s_add_i32 s7, s11, s7
	s_mul_i32 s11, s9, s12
	s_add_i32 s13, s7, s11
	s_mul_i32 s12, s8, s12
	s_ashr_i32 s3, s22, 31
	s_lshl_b64 s[12:13], s[12:13], 3
	s_mov_b32 s2, s22
	s_add_u32 s7, s20, s12
	s_addc_u32 s11, s21, s13
	s_lshl_b64 s[2:3], s[2:3], 3
	s_add_u32 s2, s7, s2
	s_addc_u32 s3, s11, s3
	v_writelane_b32 v72, s2, 0
	v_writelane_b32 v72, s3, 1
	s_andn2_b64 vcc, exec, s[0:1]
	s_cbranch_vccnz .LBB21_3
.LBB21_2:
	s_ashr_i32 s9, s8, 31
                                        ; implicit-def: $sgpr0_sgpr1
                                        ; kill: killed $sgpr0_sgpr1
.LBB21_3:
	s_load_dword s20, s[4:5], 0x0
	s_waitcnt lgkmcnt(0)
	s_mul_i32 s0, s20, 5
	s_add_i32 s0, s0, 2
	s_mul_i32 s0, s0, s8
	s_ashr_i32 s1, s0, 31
	s_lshl_b64 s[0:1], s[0:1], 2
	s_add_u32 s22, s18, s0
	s_addc_u32 s1, s19, s1
	s_ashr_i32 s21, s20, 31
	s_lshl_b64 s[2:3], s[20:21], 2
	s_add_u32 s0, s22, s2
	v_writelane_b32 v72, s1, 2
	s_addc_u32 s1, s1, s3
	s_load_dword s7, s[0:1], 0x4
	s_waitcnt lgkmcnt(0)
	s_cmp_ge_i32 s10, s7
	v_writelane_b32 v72, s7, 3
	s_cbranch_scc1 .LBB21_244
; %bb.4:
	s_load_dwordx8 s[36:43], s[4:5], 0x8
	s_load_dword s7, s[4:5], 0x7c
	s_mov_b32 s18, s23
	v_lshlrev_b32_e32 v1, 3, v0
	s_mov_b32 s30, 0
	s_waitcnt lgkmcnt(0)
	s_mul_i32 s5, s8, s39
	s_mul_hi_u32 s11, s8, s38
	s_mul_i32 s12, s9, s38
	s_add_i32 s5, s11, s5
	s_mul_i32 s4, s8, s38
	s_add_i32 s5, s5, s12
	s_lshl_b64 s[4:5], s[4:5], 3
	s_add_u32 s83, s36, s4
	s_addc_u32 s84, s37, s5
	s_mul_i32 s4, s8, s43
	s_mul_hi_u32 s5, s8, s42
	s_add_i32 s4, s5, s4
	s_mul_i32 s5, s9, s42
	s_add_i32 s5, s4, s5
	s_mul_i32 s4, s8, s42
	s_lshl_b64 s[4:5], s[4:5], 3
	s_add_u32 s85, s40, s4
	s_addc_u32 s86, s41, s5
	s_lshl_b64 s[4:5], s[8:9], 2
	s_add_u32 s4, s14, s4
	s_addc_u32 s5, s15, s5
	v_writelane_b32 v72, s4, 4
	v_writelane_b32 v72, s5, 5
	s_mul_i32 s4, s8, s20
	s_lshl_b32 s4, s4, 1
	s_ashr_i32 s5, s4, 31
	s_lshl_b64 s[4:5], s[4:5], 3
	s_add_u32 s8, s16, s4
	s_addc_u32 s9, s17, s5
	s_and_b32 s89, 0xffff, s7
	s_ashr_i32 s7, s6, 31
	s_lshl_b64 s[4:5], s[6:7], 2
	s_add_u32 s4, s0, s4
	s_addc_u32 s5, s1, s5
	s_ashr_i32 s19, s23, 31
	s_add_u32 s4, s4, 8
	s_addc_u32 s5, s5, 0
	v_writelane_b32 v72, s4, 6
	s_add_u32 s2, s4, s2
	v_writelane_b32 v72, s2, 7
	v_writelane_b32 v72, s5, 8
	s_addc_u32 s2, s5, s3
	v_writelane_b32 v72, s2, 9
	s_add_u32 s2, s83, 8
	v_writelane_b32 v72, s2, 10
	s_addc_u32 s2, s84, 0
	s_lshl_b32 s95, s89, 3
	v_writelane_b32 v72, s2, 11
	s_add_u32 s2, s8, -16
	v_writelane_b32 v72, s2, 12
	s_addc_u32 s2, s9, -1
	v_writelane_b32 v72, s2, 13
	s_add_u32 s2, s85, -8
	v_writelane_b32 v72, s2, 14
	s_addc_u32 s2, s86, -1
	s_lshl_b64 s[20:21], s[18:19], 3
	v_writelane_b32 v72, s2, 15
	s_sub_u32 s94, 0, s20
	v_readlane_b32 s2, v72, 0
	s_subb_u32 s91, 0, s21
	v_add_co_u32_e32 v56, vcc, s2, v1
	s_add_u32 s2, s83, -8
	v_readlane_b32 s3, v72, 1
	v_writelane_b32 v72, s2, 16
	s_addc_u32 s2, s84, -1
	v_writelane_b32 v72, s2, 17
	v_mov_b32_e32 v2, s3
	v_writelane_b32 v72, s8, 18
	s_add_u32 s2, s8, -8
	v_addc_co_u32_e32 v57, vcc, 0, v2, vcc
	v_writelane_b32 v72, s2, 19
	s_mov_b32 s17, 0
	v_writelane_b32 v72, s9, 20
	s_addc_u32 s2, s9, -1
	v_mov_b32_e32 v2, s86
	v_add_co_u32_e32 v58, vcc, s85, v1
	v_cmp_eq_u32_e64 s[0:1], 0, v0
	v_mul_f64 v[6:7], s[24:25], s[24:25]
	s_mov_b32 s93, s17
	v_writelane_b32 v72, s2, 21
	v_addc_co_u32_e32 v59, vcc, 0, v2, vcc
	v_mov_b32_e32 v9, 0
	s_brev_b32 s31, 8
	v_mov_b32_e32 v60, 0x260
	v_mov_b32_e32 v61, 0xffffff80
                                        ; implicit-def: $vgpr14_vgpr15
                                        ; implicit-def: $vgpr16_vgpr17
                                        ; implicit-def: $vgpr18_vgpr19
                                        ; implicit-def: $vgpr10_vgpr11
                                        ; implicit-def: $vgpr62
                                        ; implicit-def: $vgpr12_vgpr13
                                        ; implicit-def: $vgpr65
                                        ; implicit-def: $vgpr20_vgpr21
                                        ; implicit-def: $vgpr22_vgpr23
	v_writelane_b32 v72, s22, 22
	s_branch .LBB21_7
.LBB21_5:                               ;   in Loop: Header=BB21_7 Depth=1
	s_or_b64 exec, exec, s[2:3]
	v_pk_mov_b32 v[22:23], v[30:31], v[30:31] op_sel:[0,1]
	v_pk_mov_b32 v[20:21], v[26:27], v[26:27] op_sel:[0,1]
	v_mov_b32_e32 v65, v25
	s_barrier
.LBB21_6:                               ;   in Loop: Header=BB21_7 Depth=1
	s_add_i32 s10, s10, 8
	v_readlane_b32 s2, v72, 3
	s_cmp_ge_i32 s10, s2
	s_cbranch_scc1 .LBB21_244
.LBB21_7:                               ; =>This Loop Header: Depth=1
                                        ;     Child Loop BB21_24 Depth 2
                                        ;     Child Loop BB21_37 Depth 2
	;; [unrolled: 1-line block ×3, first 2 shown]
                                        ;       Child Loop BB21_47 Depth 3
                                        ;       Child Loop BB21_55 Depth 3
	;; [unrolled: 1-line block ×3, first 2 shown]
                                        ;         Child Loop BB21_70 Depth 4
                                        ;         Child Loop BB21_89 Depth 4
	;; [unrolled: 1-line block ×3, first 2 shown]
                                        ;           Child Loop BB21_136 Depth 5
                                        ;       Child Loop BB21_161 Depth 3
                                        ;         Child Loop BB21_169 Depth 4
                                        ;         Child Loop BB21_188 Depth 4
	;; [unrolled: 1-line block ×3, first 2 shown]
                                        ;           Child Loop BB21_235 Depth 5
                                        ;       Child Loop BB21_147 Depth 3
                                        ;       Child Loop BB21_154 Depth 3
                                        ;     Child Loop BB21_241 Depth 2
	s_ashr_i32 s11, s10, 31
	s_lshl_b64 s[2:3], s[10:11], 2
	s_add_u32 s2, s22, s2
	v_readlane_b32 s4, v72, 2
	s_addc_u32 s3, s4, s3
	global_load_dwordx2 v[2:3], v9, s[2:3]
	s_waitcnt vmcnt(0)
	v_readfirstlane_b32 s2, v2
	v_readfirstlane_b32 s3, v3
	s_sub_i32 s11, s3, s2
	s_cmp_lt_i32 s11, 3
	s_mov_b32 s3, s17
	s_cbranch_scc1 .LBB21_12
; %bb.8:                                ;   in Loop: Header=BB21_7 Depth=1
	s_cmp_lt_u32 s11, 5
	s_mov_b32 s3, 1
	s_cbranch_scc1 .LBB21_12
; %bb.9:                                ;   in Loop: Header=BB21_7 Depth=1
	s_cmp_lt_u32 s11, 33
	s_mov_b32 s3, 2
	s_cbranch_scc1 .LBB21_12
; %bb.10:                               ;   in Loop: Header=BB21_7 Depth=1
	s_cmpk_lt_u32 s11, 0xe9
	s_mov_b32 s3, 4
	s_cbranch_scc1 .LBB21_12
; %bb.11:                               ;   in Loop: Header=BB21_7 Depth=1
	s_cmpk_lt_u32 s11, 0x128
	s_cselect_b32 s3, 5, 7
	s_cmpk_lt_u32 s11, 0x79b
	s_cselect_b32 s3, s3, 8
.LBB21_12:                              ;   in Loop: Header=BB21_7 Depth=1
	s_lshl_b32 s3, 1, s3
	s_cmp_ge_i32 s6, s3
	s_cbranch_scc1 .LBB21_6
; %bb.13:                               ;   in Loop: Header=BB21_7 Depth=1
	s_ashr_i32 s3, s2, 31
	s_lshl_b64 s[2:3], s[2:3], 2
	v_readlane_b32 s4, v72, 6
	s_add_u32 s4, s4, s2
	v_readlane_b32 s5, v72, 8
	s_addc_u32 s5, s5, s3
	v_readlane_b32 s7, v72, 7
	s_add_u32 s2, s7, s2
	v_readlane_b32 s7, v72, 9
	s_addc_u32 s3, s7, s3
	global_load_dword v1, v9, s[4:5]
	global_load_dword v2, v9, s[2:3]
	s_waitcnt vmcnt(1)
	v_readfirstlane_b32 s40, v1
	s_waitcnt vmcnt(0)
	v_readfirstlane_b32 s8, v2
	s_and_saveexec_b64 s[2:3], s[0:1]
	s_cbranch_execz .LBB21_15
; %bb.14:                               ;   in Loop: Header=BB21_7 Depth=1
	ds_write2_b32 v9, v9, v9 offset0:6 offset1:9
.LBB21_15:                              ;   in Loop: Header=BB21_7 Depth=1
	s_or_b64 exec, exec, s[2:3]
	s_waitcnt lgkmcnt(0)
	s_barrier
	ds_read2_b32 v[2:3], v9 offset0:6 offset1:9
	s_mul_i32 s11, s11, 30
	s_ashr_i32 s9, s8, 31
	s_add_i32 s36, s40, -1
	s_waitcnt lgkmcnt(0)
	v_cmp_gt_i32_e32 vcc, s40, v2
	v_cmp_gt_i32_e64 s[2:3], s11, v3
	s_and_b64 s[2:3], vcc, s[2:3]
	v_readfirstlane_b32 s4, v2
	s_andn2_b64 vcc, exec, s[2:3]
	s_cbranch_vccnz .LBB21_237
; %bb.16:                               ;   in Loop: Header=BB21_7 Depth=1
	s_lshl_b64 s[42:43], s[8:9], 3
	s_add_u32 s44, s83, s42
	s_addc_u32 s45, s84, s43
	s_add_u32 s92, s85, s42
	s_mul_i32 s2, s8, s23
	s_addc_u32 s7, s86, s43
	s_ashr_i32 s3, s2, 31
	s_lshl_b64 s[2:3], s[2:3], 3
	s_add_u32 s5, s42, s2
	s_addc_u32 s14, s43, s3
	v_readlane_b32 s2, v72, 0
	v_readlane_b32 s3, v72, 1
	s_add_u32 s90, s5, s2
	s_addc_u32 s87, s14, s3
	v_writelane_b32 v72, s8, 23
	s_lshl_b32 s2, s8, 1
	v_writelane_b32 v72, s9, 24
	s_ashr_i32 s3, s2, 31
	s_lshl_b64 s[8:9], s[2:3], 3
	v_readlane_b32 s37, v72, 18
	s_add_u32 s46, s37, s8
	v_readlane_b32 s38, v72, 20
	s_addc_u32 s47, s38, s9
	s_ashr_i32 s41, s40, 31
	s_add_u32 s88, s92, -8
	s_addc_u32 s12, s7, -1
	s_add_u32 s48, s46, -8
	s_addc_u32 s49, s47, -1
	s_add_u32 s13, s85, s42
	s_addc_u32 s34, s86, s43
	v_readlane_b32 s15, v72, 10
	s_add_u32 s35, s15, s42
	v_readlane_b32 s15, v72, 11
	s_addc_u32 s22, s15, s43
	s_add_u32 s33, s83, s42
	s_addc_u32 s82, s84, s43
	s_lshl_b64 s[50:51], s[40:41], 3
	s_add_u32 s15, s50, s8
	s_addc_u32 s16, s51, s9
	v_readlane_b32 s39, v72, 12
	s_add_u32 s52, s39, s15
	v_readlane_b32 s39, v72, 13
	s_addc_u32 s53, s39, s16
	v_writelane_b32 v72, s52, 25
	v_writelane_b32 v72, s53, 26
	v_readlane_b32 s39, v72, 14
	s_add_u32 s54, s39, s42
	v_readlane_b32 s39, v72, 15
	s_addc_u32 s55, s39, s43
	s_add_u32 s41, s50, -8
	s_addc_u32 s52, s51, -1
	s_add_u32 s53, s37, s8
	s_addc_u32 s56, s38, s9
	v_add_co_u32_e32 v63, vcc, s5, v56
	v_readlane_b32 s5, v72, 16
	s_add_u32 s57, s5, s42
	v_readlane_b32 s5, v72, 17
	v_mov_b32_e32 v1, s14
	s_addc_u32 s14, s5, s43
	v_readlane_b32 s5, v72, 19
	s_add_u32 s8, s5, s15
	v_readlane_b32 s5, v72, 21
	s_addc_u32 s9, s5, s16
	v_cmp_gt_i32_e64 s[2:3], s40, v0
	v_addc_co_u32_e32 v64, vcc, v57, v1, vcc
	v_writelane_b32 v72, s8, 27
	v_writelane_b32 v72, s9, 28
	s_and_saveexec_b64 s[8:9], s[0:1]
	s_cbranch_execz .LBB21_40
.LBB21_17:                              ;   in Loop: Header=BB21_7 Depth=1
	s_cmp_lt_i32 s4, 1
	s_cbranch_scc1 .LBB21_19
; %bb.18:                               ;   in Loop: Header=BB21_7 Depth=1
	s_mov_b32 s5, s17
	s_lshl_b64 s[58:59], s[4:5], 3
	s_add_u32 s58, s88, s58
	s_addc_u32 s59, s12, s59
	v_mov_b32_e32 v8, v9
	global_store_dwordx2 v9, v[8:9], s[58:59]
.LBB21_19:                              ;   in Loop: Header=BB21_7 Depth=1
	s_mov_b64 s[60:61], -1
	s_mov_b64 s[64:65], 0
	s_cmp_lt_i32 s4, s36
	s_mov_b64 s[58:59], 0
	s_cbranch_scc1 .LBB21_21
; %bb.20:                               ;   in Loop: Header=BB21_7 Depth=1
	s_ashr_i32 s5, s4, 31
	s_mov_b64 s[60:61], 0
	s_mov_b64 s[58:59], -1
.LBB21_21:                              ;   in Loop: Header=BB21_7 Depth=1
	s_andn2_b64 vcc, exec, s[60:61]
	s_cbranch_vccnz .LBB21_26
; %bb.22:                               ;   in Loop: Header=BB21_7 Depth=1
	s_ashr_i32 s5, s4, 31
	s_lshl_b64 s[60:61], s[4:5], 3
	s_add_u32 s66, s13, s60
	s_addc_u32 s67, s34, s61
	s_add_u32 s64, s35, s60
	s_addc_u32 s65, s22, s61
	s_mov_b64 s[68:69], s[4:5]
	s_branch .LBB21_24
.LBB21_23:                              ;   in Loop: Header=BB21_24 Depth=2
	s_andn2_b64 vcc, exec, s[72:73]
	s_cbranch_vccz .LBB21_27
.LBB21_24:                              ;   Parent Loop BB21_7 Depth=1
                                        ; =>  This Inner Loop Header: Depth=2
	global_load_dwordx4 v[2:5], v9, s[64:65] offset:-8
	global_load_dwordx2 v[14:15], v9, s[66:67]
	s_mov_b64 s[60:61], s[66:67]
	s_mov_b64 s[62:63], s[68:69]
	s_mov_b64 s[70:71], -1
                                        ; implicit-def: $sgpr68_sgpr69
                                        ; implicit-def: $sgpr66_sgpr67
	s_waitcnt vmcnt(0)
	v_cmp_lt_f64_e64 s[72:73], |v[2:3]|, s[30:31]
	v_cndmask_b32_e64 v1, 0, 1, s[72:73]
	v_cmp_lt_f64_e64 s[74:75], |v[4:5]|, s[30:31]
	v_cndmask_b32_e64 v8, 0, 1, s[74:75]
	v_lshlrev_b32_e32 v1, 8, v1
	v_lshlrev_b32_e32 v8, 8, v8
	v_ldexp_f64 v[2:3], |v[2:3]|, v1
	v_rsq_f64_e32 v[16:17], v[2:3]
	v_ldexp_f64 v[4:5], |v[4:5]|, v8
	v_rsq_f64_e32 v[18:19], v[4:5]
	s_and_b64 s[72:73], s[72:73], exec
	v_mul_f64 v[24:25], v[2:3], v[16:17]
	v_mul_f64 v[16:17], v[16:17], 0.5
	v_mul_f64 v[26:27], v[4:5], v[18:19]
	v_mul_f64 v[18:19], v[18:19], 0.5
	v_fma_f64 v[28:29], -v[16:17], v[24:25], 0.5
	v_fma_f64 v[30:31], -v[18:19], v[26:27], 0.5
	v_fmac_f64_e32 v[24:25], v[24:25], v[28:29]
	v_fmac_f64_e32 v[16:17], v[16:17], v[28:29]
	;; [unrolled: 1-line block ×3, first 2 shown]
	v_fma_f64 v[28:29], -v[24:25], v[24:25], v[2:3]
	v_fmac_f64_e32 v[18:19], v[18:19], v[30:31]
	v_fma_f64 v[30:31], -v[26:27], v[26:27], v[4:5]
	v_fmac_f64_e32 v[24:25], v[28:29], v[16:17]
	v_fmac_f64_e32 v[26:27], v[30:31], v[18:19]
	v_fma_f64 v[28:29], -v[24:25], v[24:25], v[2:3]
	s_cselect_b32 s15, 0xffffff80, 0
	s_and_b64 s[72:73], s[74:75], exec
	v_fma_f64 v[30:31], -v[26:27], v[26:27], v[4:5]
	v_fmac_f64_e32 v[24:25], v[28:29], v[16:17]
	s_cselect_b32 s16, 0xffffff80, 0
	v_fmac_f64_e32 v[26:27], v[30:31], v[18:19]
	v_ldexp_f64 v[16:17], v[24:25], s15
	v_cmp_class_f64_e32 vcc, v[2:3], v60
	v_ldexp_f64 v[18:19], v[26:27], s16
	v_cndmask_b32_e32 v3, v17, v3, vcc
	v_cndmask_b32_e32 v2, v16, v2, vcc
	v_cmp_class_f64_e32 vcc, v[4:5], v60
	v_cndmask_b32_e32 v5, v19, v5, vcc
	v_cndmask_b32_e32 v4, v18, v4, vcc
	v_mul_f64 v[2:3], v[2:3], v[4:5]
	v_mul_f64 v[2:3], v[2:3], s[24:25]
	s_waitcnt vmcnt(0)
	v_cmp_nle_f64_e64 s[72:73], |v[14:15]|, v[2:3]
	s_and_b64 vcc, exec, s[72:73]
	s_mov_b64 s[72:73], -1
	s_cbranch_vccz .LBB21_23
; %bb.25:                               ;   in Loop: Header=BB21_24 Depth=2
	s_add_u32 s68, s62, 1
	s_addc_u32 s69, s63, 0
	s_add_u32 s66, s60, 8
	s_addc_u32 s67, s61, 0
	;; [unrolled: 2-line block ×3, first 2 shown]
	s_cmp_ge_i32 s68, s36
	s_mov_b64 s[70:71], 0
	s_cselect_b64 s[72:73], -1, 0
	s_branch .LBB21_23
.LBB21_26:                              ;   in Loop: Header=BB21_7 Depth=1
	s_mov_b32 s15, s4
	s_mov_b64 s[66:67], s[4:5]
	s_and_b64 vcc, exec, s[58:59]
	s_cbranch_vccnz .LBB21_30
	s_branch .LBB21_31
.LBB21_27:                              ;   in Loop: Header=BB21_7 Depth=1
	s_xor_b64 s[38:39], s[70:71], -1
	s_mov_b64 s[64:65], -1
	s_and_b64 vcc, exec, s[38:39]
                                        ; implicit-def: $sgpr66_sgpr67
	s_cbranch_vccz .LBB21_29
; %bb.28:                               ;   in Loop: Header=BB21_7 Depth=1
	s_ashr_i32 s37, s36, 31
	s_mov_b64 s[58:59], -1
	s_mov_b64 s[64:65], 0
	s_mov_b64 s[66:67], s[36:37]
.LBB21_29:                              ;   in Loop: Header=BB21_7 Depth=1
	v_pk_mov_b32 v[14:15], s[62:63], s[62:63] op_sel:[0,1]
	v_pk_mov_b32 v[16:17], s[60:61], s[60:61] op_sel:[0,1]
	;; [unrolled: 1-line block ×3, first 2 shown]
	s_mov_b32 s15, s36
	s_and_b64 vcc, exec, s[58:59]
	s_cbranch_vccz .LBB21_31
.LBB21_30:                              ;   in Loop: Header=BB21_7 Depth=1
	v_mov_b32_e32 v1, s15
	ds_write_b32 v9, v1 offset:20
.LBB21_31:                              ;   in Loop: Header=BB21_7 Depth=1
	s_andn2_b64 vcc, exec, s[64:65]
	v_pk_mov_b32 v[2:3], s[4:5], s[4:5] op_sel:[0,1]
	v_pk_mov_b32 v[4:5], s[66:67], s[66:67] op_sel:[0,1]
	v_mov_b32_e32 v1, s15
	s_cbranch_vccnz .LBB21_33
; %bb.32:                               ;   in Loop: Header=BB21_7 Depth=1
	v_mov_b32_e32 v8, v9
	v_pk_mov_b32 v[2:3], v[18:19], v[18:19] op_sel:[0,1]
	v_pk_mov_b32 v[4:5], v[14:15], v[14:15] op_sel:[0,1]
	v_mov_b32_e32 v1, v14
	ds_write_b32 v9, v14 offset:20
	global_store_dwordx2 v[16:17], v[8:9], off
.LBB21_33:                              ;   in Loop: Header=BB21_7 Depth=1
	v_lshlrev_b64 v[4:5], 3, v[4:5]
	v_mov_b32_e32 v8, s45
	v_add_co_u32_e32 v4, vcc, s44, v4
	v_addc_co_u32_e32 v5, vcc, v8, v5, vcc
	v_lshlrev_b64 v[24:25], 3, v[2:3]
	v_mov_b32_e32 v2, s45
	v_add_co_u32_e32 v26, vcc, s44, v24
	v_addc_co_u32_e32 v27, vcc, v2, v25, vcc
	global_load_dwordx2 v[2:3], v[4:5], off
	s_nop 0
	global_load_dwordx2 v[4:5], v[26:27], off
	v_mov_b32_e32 v27, s4
	v_add_u32_e32 v26, 1, v1
	ds_write_b32 v9, v27 offset:16
	ds_write2_b32 v9, v1, v1 offset0:8 offset1:10
	ds_write_b64 v9, v[26:27] offset:24
	s_waitcnt vmcnt(0)
	v_cmp_lt_f64_e64 s[60:61], |v[2:3]|, |v[4:5]|
	s_and_saveexec_b64 s[58:59], s[60:61]
	s_cbranch_execz .LBB21_35
; %bb.34:                               ;   in Loop: Header=BB21_7 Depth=1
	v_mov_b32_e32 v4, s4
	ds_write2_b32 v9, v1, v4 offset0:4 offset1:8
.LBB21_35:                              ;   in Loop: Header=BB21_7 Depth=1
	s_or_b64 exec, exec, s[58:59]
	v_and_b32_e32 v3, 0x7fffffff, v3
	v_cmp_lt_i32_e32 vcc, s4, v1
	s_and_saveexec_b64 s[58:59], vcc
	s_cbranch_execz .LBB21_39
; %bb.36:                               ;   in Loop: Header=BB21_7 Depth=1
	v_mov_b32_e32 v5, s82
	v_add_co_u32_e32 v4, vcc, s33, v24
	v_addc_co_u32_e32 v5, vcc, v5, v25, vcc
	v_mov_b32_e32 v8, s34
	v_add_co_u32_e32 v24, vcc, s13, v24
	v_addc_co_u32_e32 v25, vcc, v8, v25, vcc
	s_mov_b64 s[60:61], 0
.LBB21_37:                              ;   Parent Loop BB21_7 Depth=1
                                        ; =>  This Inner Loop Header: Depth=2
	global_load_dwordx2 v[26:27], v[24:25], off
	global_load_dwordx2 v[28:29], v[4:5], off
	v_add_co_u32_e32 v4, vcc, 8, v4
	v_addc_co_u32_e32 v5, vcc, 0, v5, vcc
	v_add_co_u32_e32 v24, vcc, 8, v24
	s_add_i32 s4, s4, 1
	v_addc_co_u32_e32 v25, vcc, 0, v25, vcc
	v_max_f64 v[2:3], v[2:3], v[2:3]
	v_cmp_ge_i32_e32 vcc, s4, v1
	s_or_b64 s[60:61], vcc, s[60:61]
	s_waitcnt vmcnt(1)
	v_max_f64 v[26:27], |v[26:27]|, |v[26:27]|
	s_waitcnt vmcnt(0)
	v_max_f64 v[28:29], |v[28:29]|, |v[28:29]|
	v_max_f64 v[26:27], v[28:29], v[26:27]
	v_max_f64 v[2:3], v[2:3], v[26:27]
	s_andn2_b64 exec, exec, s[60:61]
	s_cbranch_execnz .LBB21_37
; %bb.38:                               ;   in Loop: Header=BB21_7 Depth=1
	s_or_b64 exec, exec, s[60:61]
.LBB21_39:                              ;   in Loop: Header=BB21_7 Depth=1
	s_or_b64 exec, exec, s[58:59]
	ds_write_b64 v9, v[2:3] offset:8
.LBB21_40:                              ;   Parent Loop BB21_7 Depth=1
                                        ; =>  This Loop Header: Depth=2
                                        ;       Child Loop BB21_47 Depth 3
                                        ;       Child Loop BB21_55 Depth 3
	;; [unrolled: 1-line block ×3, first 2 shown]
                                        ;         Child Loop BB21_70 Depth 4
                                        ;         Child Loop BB21_89 Depth 4
	;; [unrolled: 1-line block ×3, first 2 shown]
                                        ;           Child Loop BB21_136 Depth 5
                                        ;       Child Loop BB21_161 Depth 3
                                        ;         Child Loop BB21_169 Depth 4
                                        ;         Child Loop BB21_188 Depth 4
	;; [unrolled: 1-line block ×3, first 2 shown]
                                        ;           Child Loop BB21_235 Depth 5
                                        ;       Child Loop BB21_147 Depth 3
                                        ;       Child Loop BB21_154 Depth 3
	s_or_b64 exec, exec, s[8:9]
	s_waitcnt lgkmcnt(0)
	s_barrier
	ds_read2_b32 v[4:5], v9 offset0:4 offset1:8
	ds_read_b64 v[2:3], v9 offset:8
	s_waitcnt lgkmcnt(0)
	v_readfirstlane_b32 s4, v5
	v_readfirstlane_b32 s5, v4
	s_cmp_eq_u32 s4, s5
	s_cselect_b64 s[4:5], -1, 0
	s_waitcnt lgkmcnt(0)
	v_cmp_eq_f64_e32 vcc, 0, v[2:3]
	s_or_b64 s[4:5], s[4:5], vcc
	s_and_b64 vcc, exec, s[4:5]
	s_cbranch_vccnz .LBB21_138
; %bb.41:                               ;   in Loop: Header=BB21_40 Depth=2
	v_cmp_nlt_f64_e32 vcc, s[28:29], v[2:3]
	s_mov_b64 s[4:5], -1
	s_cbranch_vccz .LBB21_50
; %bb.42:                               ;   in Loop: Header=BB21_40 Depth=2
	v_cmp_ngt_f64_e32 vcc, s[26:27], v[2:3]
	s_cbranch_vccnz .LBB21_49
; %bb.43:                               ;   in Loop: Header=BB21_40 Depth=2
	v_div_scale_f64 v[24:25], s[4:5], s[26:27], s[26:27], v[2:3]
	v_rcp_f64_e32 v[26:27], v[24:25]
	ds_read2_b32 v[4:5], v9 offset0:7 offset1:10
	v_fma_f64 v[28:29], -v[24:25], v[26:27], 1.0
	v_fmac_f64_e32 v[26:27], v[26:27], v[28:29]
	v_fma_f64 v[28:29], -v[24:25], v[26:27], 1.0
	v_fmac_f64_e32 v[26:27], v[26:27], v[28:29]
	v_div_scale_f64 v[28:29], vcc, v[2:3], s[26:27], v[2:3]
	v_mul_f64 v[30:31], v[28:29], v[26:27]
	v_fma_f64 v[24:25], -v[24:25], v[30:31], v[28:29]
	s_nop 1
	v_div_fmas_f64 v[24:25], v[24:25], v[26:27], v[30:31]
	v_div_fixup_f64 v[24:25], v[24:25], s[26:27], v[2:3]
	s_and_saveexec_b64 s[4:5], s[0:1]
	s_cbranch_execz .LBB21_45
; %bb.44:                               ;   in Loop: Header=BB21_40 Depth=2
	s_waitcnt lgkmcnt(0)
	v_ashrrev_i32_e32 v27, 31, v5
	v_mov_b32_e32 v26, v5
	v_lshlrev_b64 v[26:27], 3, v[26:27]
	v_mov_b32_e32 v1, s45
	v_add_co_u32_e32 v26, vcc, s44, v26
	v_addc_co_u32_e32 v27, vcc, v1, v27, vcc
	global_load_dwordx2 v[28:29], v[26:27], off
	s_waitcnt vmcnt(0)
	v_mul_f64 v[28:29], v[24:25], v[28:29]
	global_store_dwordx2 v[26:27], v[28:29], off
.LBB21_45:                              ;   in Loop: Header=BB21_40 Depth=2
	s_or_b64 exec, exec, s[4:5]
	s_waitcnt lgkmcnt(0)
	v_add_u32_e32 v26, v4, v0
	v_cmp_lt_i32_e32 vcc, v26, v5
	s_and_saveexec_b64 s[4:5], vcc
	s_cbranch_execz .LBB21_48
; %bb.46:                               ;   in Loop: Header=BB21_40 Depth=2
	v_ashrrev_i32_e32 v27, 31, v26
	v_lshlrev_b64 v[28:29], 3, v[26:27]
	v_mov_b32_e32 v1, s43
	v_add_co_u32_e32 v4, vcc, s42, v28
	v_addc_co_u32_e32 v1, vcc, v1, v29, vcc
	s_mov_b64 s[8:9], 0
.LBB21_47:                              ;   Parent Loop BB21_7 Depth=1
                                        ;     Parent Loop BB21_40 Depth=2
                                        ; =>    This Inner Loop Header: Depth=3
	v_mov_b32_e32 v8, s84
	v_add_co_u32_e32 v28, vcc, s83, v4
	v_addc_co_u32_e32 v29, vcc, v8, v1, vcc
	global_load_dwordx2 v[30:31], v[28:29], off
	v_mov_b32_e32 v8, s86
	v_add_co_u32_e32 v32, vcc, s85, v4
	v_addc_co_u32_e32 v33, vcc, v8, v1, vcc
	v_mov_b32_e32 v8, s93
	v_add_co_u32_e32 v4, vcc, s95, v4
	v_add_u32_e32 v26, s89, v26
	v_addc_co_u32_e32 v1, vcc, v1, v8, vcc
	v_cmp_ge_i32_e32 vcc, v26, v5
	s_or_b64 s[8:9], vcc, s[8:9]
	s_waitcnt vmcnt(0)
	v_mul_f64 v[30:31], v[24:25], v[30:31]
	global_store_dwordx2 v[28:29], v[30:31], off
	global_load_dwordx2 v[28:29], v[32:33], off
	s_waitcnt vmcnt(0)
	v_mul_f64 v[28:29], v[24:25], v[28:29]
	global_store_dwordx2 v[32:33], v[28:29], off
	s_andn2_b64 exec, exec, s[8:9]
	s_cbranch_execnz .LBB21_47
.LBB21_48:                              ;   in Loop: Header=BB21_40 Depth=2
	s_or_b64 exec, exec, s[4:5]
.LBB21_49:                              ;   in Loop: Header=BB21_40 Depth=2
	s_mov_b64 s[4:5], 0
.LBB21_50:                              ;   in Loop: Header=BB21_40 Depth=2
	s_andn2_b64 vcc, exec, s[4:5]
	s_cbranch_vccnz .LBB21_57
; %bb.51:                               ;   in Loop: Header=BB21_40 Depth=2
	v_div_scale_f64 v[24:25], s[4:5], s[28:29], s[28:29], v[2:3]
	v_rcp_f64_e32 v[26:27], v[24:25]
	ds_read2_b32 v[4:5], v9 offset0:7 offset1:10
	v_fma_f64 v[28:29], -v[24:25], v[26:27], 1.0
	v_fmac_f64_e32 v[26:27], v[26:27], v[28:29]
	v_fma_f64 v[28:29], -v[24:25], v[26:27], 1.0
	v_fmac_f64_e32 v[26:27], v[26:27], v[28:29]
	v_div_scale_f64 v[28:29], vcc, v[2:3], s[28:29], v[2:3]
	v_mul_f64 v[30:31], v[28:29], v[26:27]
	v_fma_f64 v[24:25], -v[24:25], v[30:31], v[28:29]
	s_nop 1
	v_div_fmas_f64 v[24:25], v[24:25], v[26:27], v[30:31]
	v_div_fixup_f64 v[2:3], v[24:25], s[28:29], v[2:3]
	s_and_saveexec_b64 s[4:5], s[0:1]
	s_cbranch_execz .LBB21_53
; %bb.52:                               ;   in Loop: Header=BB21_40 Depth=2
	s_waitcnt lgkmcnt(0)
	v_ashrrev_i32_e32 v25, 31, v5
	v_mov_b32_e32 v24, v5
	v_lshlrev_b64 v[24:25], 3, v[24:25]
	v_mov_b32_e32 v1, s45
	v_add_co_u32_e32 v24, vcc, s44, v24
	v_addc_co_u32_e32 v25, vcc, v1, v25, vcc
	global_load_dwordx2 v[26:27], v[24:25], off
	s_waitcnt vmcnt(0)
	v_mul_f64 v[26:27], v[2:3], v[26:27]
	global_store_dwordx2 v[24:25], v[26:27], off
.LBB21_53:                              ;   in Loop: Header=BB21_40 Depth=2
	s_or_b64 exec, exec, s[4:5]
	s_waitcnt lgkmcnt(0)
	v_add_u32_e32 v24, v4, v0
	v_cmp_lt_i32_e32 vcc, v24, v5
	s_and_saveexec_b64 s[4:5], vcc
	s_cbranch_execz .LBB21_56
; %bb.54:                               ;   in Loop: Header=BB21_40 Depth=2
	v_ashrrev_i32_e32 v25, 31, v24
	v_lshlrev_b64 v[26:27], 3, v[24:25]
	v_mov_b32_e32 v1, s43
	v_add_co_u32_e32 v4, vcc, s42, v26
	v_addc_co_u32_e32 v1, vcc, v1, v27, vcc
	s_mov_b64 s[8:9], 0
.LBB21_55:                              ;   Parent Loop BB21_7 Depth=1
                                        ;     Parent Loop BB21_40 Depth=2
                                        ; =>    This Inner Loop Header: Depth=3
	v_mov_b32_e32 v8, s84
	v_add_co_u32_e32 v26, vcc, s83, v4
	v_addc_co_u32_e32 v27, vcc, v8, v1, vcc
	global_load_dwordx2 v[28:29], v[26:27], off
	v_mov_b32_e32 v8, s86
	v_add_co_u32_e32 v30, vcc, s85, v4
	v_addc_co_u32_e32 v31, vcc, v8, v1, vcc
	v_mov_b32_e32 v8, s93
	v_add_co_u32_e32 v4, vcc, s95, v4
	v_add_u32_e32 v24, s89, v24
	v_addc_co_u32_e32 v1, vcc, v1, v8, vcc
	v_cmp_ge_i32_e32 vcc, v24, v5
	s_or_b64 s[8:9], vcc, s[8:9]
	s_waitcnt vmcnt(0)
	v_mul_f64 v[28:29], v[2:3], v[28:29]
	global_store_dwordx2 v[26:27], v[28:29], off
	global_load_dwordx2 v[26:27], v[30:31], off
	s_waitcnt vmcnt(0)
	v_mul_f64 v[26:27], v[2:3], v[26:27]
	global_store_dwordx2 v[30:31], v[26:27], off
	s_andn2_b64 exec, exec, s[8:9]
	s_cbranch_execnz .LBB21_55
.LBB21_56:                              ;   in Loop: Header=BB21_40 Depth=2
	s_or_b64 exec, exec, s[4:5]
.LBB21_57:                              ;   in Loop: Header=BB21_40 Depth=2
	s_barrier
	ds_read_b32 v24, v9 offset:16
	ds_read_b64 v[28:29], v9 offset:32
	s_waitcnt lgkmcnt(0)
	v_cmp_gt_i32_e64 s[4:5], s11, v29
	v_cmp_lt_i32_e32 vcc, v28, v24
	v_cndmask_b32_e64 v1, 0, 1, s[4:5]
	v_cmp_ne_u32_e64 s[4:5], 1, v1
	s_cbranch_vccnz .LBB21_139
; %bb.58:                               ;   in Loop: Header=BB21_40 Depth=2
	s_and_b64 vcc, exec, s[4:5]
	v_pk_mov_b32 v[30:31], v[22:23], v[22:23] op_sel:[0,1]
	v_pk_mov_b32 v[26:27], v[20:21], v[20:21] op_sel:[0,1]
	v_mov_b32_e32 v25, v65
	v_mov_b32_e32 v39, v29
	;; [unrolled: 1-line block ×4, first 2 shown]
	s_cbranch_vccz .LBB21_62
.LBB21_59:                              ;   in Loop: Header=BB21_40 Depth=2
	s_cbranch_execz .LBB21_140
	s_branch .LBB21_142
.LBB21_60:                              ;   in Loop: Header=BB21_62 Depth=3
	s_or_b64 exec, exec, s[58:59]
	s_waitcnt lgkmcnt(0)
	s_barrier
	ds_read_b32 v32, v9 offset:16
.LBB21_61:                              ;   in Loop: Header=BB21_62 Depth=3
	ds_read_b64 v[38:39], v9 offset:32
	s_waitcnt lgkmcnt(0)
	v_cmp_le_i32_e32 vcc, v32, v38
	v_cmp_gt_i32_e64 s[8:9], s11, v39
	s_and_b64 s[8:9], vcc, s[8:9]
	s_andn2_b64 vcc, exec, s[8:9]
	s_cbranch_vccnz .LBB21_59
.LBB21_62:                              ;   Parent Loop BB21_7 Depth=1
                                        ;     Parent Loop BB21_40 Depth=2
                                        ; =>    This Loop Header: Depth=3
                                        ;         Child Loop BB21_70 Depth 4
                                        ;         Child Loop BB21_89 Depth 4
                                        ;         Child Loop BB21_135 Depth 4
                                        ;           Child Loop BB21_136 Depth 5
	s_and_saveexec_b64 s[58:59], s[0:1]
	s_cbranch_execz .LBB21_131
; %bb.63:                               ;   in Loop: Header=BB21_62 Depth=3
	v_cmp_lt_i32_e32 vcc, v32, v38
	s_mov_b64 s[8:9], 0
	s_cbranch_vccnz .LBB21_67
; %bb.64:                               ;   in Loop: Header=BB21_62 Depth=3
	v_ashrrev_i32_e32 v33, 31, v32
	s_mov_b64 s[60:61], -1
	v_pk_mov_b32 v[4:5], v[32:33], v[32:33] op_sel:[0,1]
	v_mov_b32_e32 v2, v32
	s_cbranch_execz .LBB21_68
; %bb.65:                               ;   in Loop: Header=BB21_62 Depth=3
	s_and_b64 vcc, exec, s[60:61]
	s_cbranch_vccz .LBB21_73
.LBB21_66:                              ;   in Loop: Header=BB21_62 Depth=3
	ds_write2_b32 v9, v2, v32 offset0:5 offset1:7
	s_cbranch_execz .LBB21_74
	s_branch .LBB21_75
.LBB21_67:                              ;   in Loop: Header=BB21_62 Depth=3
                                        ; implicit-def: $vgpr4_vgpr5
	s_mov_b64 s[60:61], 0
	v_mov_b32_e32 v2, v32
.LBB21_68:                              ;   in Loop: Header=BB21_62 Depth=3
	v_ashrrev_i32_e32 v33, 31, v32
	v_lshlrev_b64 v[2:3], 3, v[32:33]
	v_mov_b32_e32 v1, s34
	v_add_co_u32_e32 v4, vcc, s13, v2
	v_addc_co_u32_e32 v5, vcc, v1, v3, vcc
	v_mov_b32_e32 v1, s82
	v_add_co_u32_e32 v2, vcc, s33, v2
	v_addc_co_u32_e32 v3, vcc, v1, v3, vcc
	v_mov_b32_e32 v1, v32
	s_branch .LBB21_70
.LBB21_69:                              ;   in Loop: Header=BB21_70 Depth=4
	v_add_co_u32_e32 v4, vcc, 8, v26
	v_addc_co_u32_e32 v5, vcc, 0, v27, vcc
	v_add_u32_e32 v1, 1, v25
	v_add_co_u32_e32 v2, vcc, 8, v2
	v_addc_co_u32_e32 v3, vcc, 0, v3, vcc
	s_mov_b64 s[8:9], 0
	v_cmp_ge_i32_e64 s[60:61], v1, v38
	s_andn2_b64 vcc, exec, s[60:61]
	s_cbranch_vccz .LBB21_72
.LBB21_70:                              ;   Parent Loop BB21_7 Depth=1
                                        ;     Parent Loop BB21_40 Depth=2
                                        ;       Parent Loop BB21_62 Depth=3
                                        ; =>      This Inner Loop Header: Depth=4
	v_pk_mov_b32 v[26:27], v[4:5], v[4:5] op_sel:[0,1]
	global_load_dwordx4 v[34:37], v[2:3], off
	s_nop 0
	global_load_dwordx2 v[4:5], v[4:5], off
	v_mov_b32_e32 v25, v1
	s_waitcnt vmcnt(0)
	v_mul_f64 v[30:31], v[34:35], v[36:37]
	s_waitcnt vmcnt(0)
	v_mul_f64 v[4:5], v[4:5], v[4:5]
	v_mul_f64 v[30:31], v[6:7], |v[30:31]|
	v_cmp_le_f64_e64 s[8:9], |v[4:5]|, v[30:31]
	s_and_b64 vcc, exec, s[8:9]
	s_cbranch_vccz .LBB21_69
; %bb.71:                               ;   in Loop: Header=BB21_62 Depth=3
	s_mov_b64 s[8:9], -1
                                        ; implicit-def: $vgpr1
                                        ; implicit-def: $vgpr4_vgpr5
                                        ; implicit-def: $vgpr2_vgpr3
.LBB21_72:                              ;   in Loop: Header=BB21_62 Depth=3
	s_xor_b64 s[60:61], s[8:9], -1
	s_mov_b64 s[8:9], -1
	v_pk_mov_b32 v[30:31], v[32:33], v[32:33] op_sel:[0,1]
	v_mov_b32_e32 v2, v38
	v_pk_mov_b32 v[4:5], v[32:33], v[32:33] op_sel:[0,1]
	s_and_b64 vcc, exec, s[60:61]
	s_cbranch_vccnz .LBB21_66
.LBB21_73:                              ;   in Loop: Header=BB21_62 Depth=3
                                        ; implicit-def: $vgpr2
                                        ; implicit-def: $vgpr4_vgpr5
	s_andn2_b64 vcc, exec, s[8:9]
	s_cbranch_vccnz .LBB21_75
.LBB21_74:                              ;   in Loop: Header=BB21_62 Depth=3
	v_mov_b32_e32 v8, v9
	v_pk_mov_b32 v[4:5], v[30:31], v[30:31] op_sel:[0,1]
	v_mov_b32_e32 v2, v25
	ds_write2_b32 v9, v25, v32 offset0:5 offset1:7
	global_store_dwordx2 v[26:27], v[8:9], off
.LBB21_75:                              ;   in Loop: Header=BB21_62 Depth=3
	v_lshlrev_b64 v[36:37], 3, v[4:5]
	v_mov_b32_e32 v1, s45
	v_add_co_u32_e32 v34, vcc, s44, v36
	v_addc_co_u32_e32 v35, vcc, v1, v37, vcc
	global_load_dwordx2 v[42:43], v[34:35], off
	v_cmp_ne_u32_e32 vcc, v2, v32
	v_add_u32_e32 v1, 1, v32
	s_waitcnt vmcnt(0)
	ds_write_b64 v9, v[42:43]
	s_and_saveexec_b64 s[8:9], vcc
	s_xor_b64 s[60:61], exec, s[8:9]
	s_cbranch_execz .LBB21_128
; %bb.76:                               ;   in Loop: Header=BB21_62 Depth=3
	v_cmp_ne_u32_e32 vcc, v2, v1
	s_and_saveexec_b64 s[8:9], vcc
	s_xor_b64 s[62:63], exec, s[8:9]
	s_cbranch_execz .LBB21_104
; %bb.77:                               ;   in Loop: Header=BB21_62 Depth=3
	v_mov_b32_e32 v1, s7
	v_add_co_u32_e32 v4, vcc, s92, v36
	v_addc_co_u32_e32 v5, vcc, v1, v37, vcc
	global_load_dwordx2 v[40:41], v[34:35], off offset:8
	global_load_dwordx2 v[50:51], v[4:5], off
	v_ashrrev_i32_e32 v3, 31, v2
	v_lshlrev_b64 v[48:49], 3, v[2:3]
	v_mov_b32_e32 v1, s45
	v_add_co_u32_e32 v44, vcc, s44, v48
	v_addc_co_u32_e32 v45, vcc, v1, v49, vcc
	global_load_dwordx2 v[46:47], v[44:45], off
	v_add_u32_e32 v1, 1, v39
	v_mov_b32_e32 v8, v9
	ds_write_b32 v9, v1 offset:36
	ds_write_b64 v9, v[8:9]
	v_mov_b32_e32 v36, 0
	v_mov_b32_e32 v37, 0x3ff00000
	s_waitcnt vmcnt(2)
	v_add_f64 v[38:39], v[40:41], -v[42:43]
	s_waitcnt vmcnt(1)
	v_add_f64 v[40:41], v[50:51], v[50:51]
	v_div_scale_f64 v[52:53], s[8:9], v[40:41], v[40:41], v[38:39]
	v_rcp_f64_e32 v[54:55], v[52:53]
	v_div_scale_f64 v[66:67], vcc, v[38:39], v[40:41], v[38:39]
	v_cmp_gt_i32_e64 s[8:9], v2, v32
	v_fma_f64 v[68:69], -v[52:53], v[54:55], 1.0
	v_fmac_f64_e32 v[54:55], v[54:55], v[68:69]
	v_fma_f64 v[68:69], -v[52:53], v[54:55], 1.0
	v_fmac_f64_e32 v[54:55], v[54:55], v[68:69]
	v_mul_f64 v[68:69], v[66:67], v[54:55]
	v_fma_f64 v[52:53], -v[52:53], v[68:69], v[66:67]
	v_div_fmas_f64 v[52:53], v[52:53], v[54:55], v[68:69]
	v_div_fixup_f64 v[38:39], v[52:53], v[40:41], v[38:39]
	v_fma_f64 v[40:41], v[38:39], v[38:39], 1.0
	v_cmp_gt_f64_e32 vcc, s[30:31], v[40:41]
	v_cndmask_b32_e64 v3, 0, 1, vcc
	v_lshlrev_b32_e32 v3, 8, v3
	v_ldexp_f64 v[40:41], v[40:41], v3
	v_rsq_f64_e32 v[52:53], v[40:41]
	v_cndmask_b32_e32 v1, 0, v61, vcc
	v_cmp_class_f64_e32 vcc, v[40:41], v60
	v_mul_f64 v[54:55], v[40:41], v[52:53]
	v_mul_f64 v[52:53], v[52:53], 0.5
	v_fma_f64 v[66:67], -v[52:53], v[54:55], 0.5
	v_fmac_f64_e32 v[54:55], v[54:55], v[66:67]
	v_fmac_f64_e32 v[52:53], v[52:53], v[66:67]
	v_fma_f64 v[66:67], -v[54:55], v[54:55], v[40:41]
	v_fmac_f64_e32 v[54:55], v[66:67], v[52:53]
	v_fma_f64 v[66:67], -v[54:55], v[54:55], v[40:41]
	v_fmac_f64_e32 v[54:55], v[66:67], v[52:53]
	v_ldexp_f64 v[52:53], v[54:55], v1
	v_cndmask_b32_e32 v1, v53, v41, vcc
	v_cndmask_b32_e32 v40, v52, v40, vcc
	v_and_b32_e32 v3, 0x7fffffff, v1
	v_or_b32_e32 v1, 0x80000000, v1
	v_cmp_nle_f64_e32 vcc, 0, v[38:39]
	v_cndmask_b32_e32 v41, v3, v1, vcc
	v_add_f64 v[38:39], v[38:39], v[40:41]
	v_div_scale_f64 v[40:41], s[64:65], v[38:39], v[38:39], v[50:51]
	v_rcp_f64_e32 v[52:53], v[40:41]
	v_div_scale_f64 v[66:67], vcc, v[50:51], v[38:39], v[50:51]
	s_waitcnt vmcnt(0)
	v_add_f64 v[54:55], v[46:47], -v[42:43]
	v_fma_f64 v[68:69], -v[40:41], v[52:53], 1.0
	v_fmac_f64_e32 v[52:53], v[52:53], v[68:69]
	v_fma_f64 v[68:69], -v[40:41], v[52:53], 1.0
	v_fmac_f64_e32 v[52:53], v[52:53], v[68:69]
	v_mul_f64 v[68:69], v[66:67], v[52:53]
	v_fma_f64 v[40:41], -v[40:41], v[68:69], v[66:67]
	v_div_fmas_f64 v[40:41], v[40:41], v[52:53], v[68:69]
	v_div_fixup_f64 v[38:39], v[40:41], v[38:39], v[50:51]
	v_add_f64 v[38:39], v[54:55], v[38:39]
	v_pk_mov_b32 v[40:41], 0, 0
	s_and_saveexec_b64 s[64:65], s[8:9]
	s_cbranch_execz .LBB21_103
; %bb.78:                               ;   in Loop: Header=BB21_62 Depth=3
	v_mov_b32_e32 v1, s12
	v_add_co_u32_e32 v40, vcc, s88, v48
	v_addc_co_u32_e32 v41, vcc, v1, v49, vcc
	global_load_dwordx2 v[42:43], v[40:41], off
	v_pk_mov_b32 v[50:51], 0, 0
	s_waitcnt vmcnt(0)
	v_cmp_neq_f64_e32 vcc, 0, v[42:43]
	s_and_saveexec_b64 s[8:9], vcc
	s_cbranch_execz .LBB21_86
; %bb.79:                               ;   in Loop: Header=BB21_62 Depth=3
	v_mov_b32_e32 v50, 0
	v_cmp_neq_f64_e32 vcc, 0, v[38:39]
	v_mov_b32_e32 v51, 0x3ff00000
	v_pk_mov_b32 v[36:37], 0, 0
	s_and_saveexec_b64 s[66:67], vcc
	s_cbranch_execz .LBB21_85
; %bb.80:                               ;   in Loop: Header=BB21_62 Depth=3
	v_cmp_ngt_f64_e64 s[68:69], |v[42:43]|, |v[38:39]|
                                        ; implicit-def: $vgpr50_vgpr51
                                        ; implicit-def: $vgpr36_vgpr37
	s_and_saveexec_b64 s[70:71], s[68:69]
	s_xor_b64 s[68:69], exec, s[70:71]
	s_cbranch_execz .LBB21_82
; %bb.81:                               ;   in Loop: Header=BB21_62 Depth=3
	v_div_scale_f64 v[36:37], s[70:71], v[38:39], v[38:39], -v[42:43]
	v_rcp_f64_e32 v[40:41], v[36:37]
	v_div_scale_f64 v[50:51], vcc, -v[42:43], v[38:39], -v[42:43]
	v_fma_f64 v[52:53], -v[36:37], v[40:41], 1.0
	v_fmac_f64_e32 v[40:41], v[40:41], v[52:53]
	v_fma_f64 v[52:53], -v[36:37], v[40:41], 1.0
	v_fmac_f64_e32 v[40:41], v[40:41], v[52:53]
	v_mul_f64 v[52:53], v[50:51], v[40:41]
	v_fma_f64 v[36:37], -v[36:37], v[52:53], v[50:51]
	v_div_fmas_f64 v[36:37], v[36:37], v[40:41], v[52:53]
	v_div_fixup_f64 v[38:39], v[36:37], v[38:39], -v[42:43]
	v_fma_f64 v[36:37], v[38:39], v[38:39], 1.0
	v_cmp_gt_f64_e32 vcc, s[30:31], v[36:37]
	v_cndmask_b32_e64 v1, 0, 1, vcc
	v_lshlrev_b32_e32 v1, 8, v1
	v_ldexp_f64 v[36:37], v[36:37], v1
	v_rsq_f64_e32 v[40:41], v[36:37]
	v_cndmask_b32_e32 v1, 0, v61, vcc
	v_cmp_class_f64_e32 vcc, v[36:37], v60
	v_mul_f64 v[50:51], v[36:37], v[40:41]
	v_mul_f64 v[40:41], v[40:41], 0.5
	v_fma_f64 v[52:53], -v[40:41], v[50:51], 0.5
	v_fmac_f64_e32 v[50:51], v[50:51], v[52:53]
	v_fmac_f64_e32 v[40:41], v[40:41], v[52:53]
	v_fma_f64 v[52:53], -v[50:51], v[50:51], v[36:37]
	v_fmac_f64_e32 v[50:51], v[52:53], v[40:41]
	v_fma_f64 v[52:53], -v[50:51], v[50:51], v[36:37]
	v_fmac_f64_e32 v[50:51], v[52:53], v[40:41]
	v_ldexp_f64 v[40:41], v[50:51], v1
	v_cndmask_b32_e32 v37, v41, v37, vcc
	v_cndmask_b32_e32 v36, v40, v36, vcc
	v_div_scale_f64 v[40:41], s[70:71], v[36:37], v[36:37], 1.0
	v_rcp_f64_e32 v[50:51], v[40:41]
	v_fma_f64 v[52:53], -v[40:41], v[50:51], 1.0
	v_fmac_f64_e32 v[50:51], v[50:51], v[52:53]
	v_fma_f64 v[52:53], -v[40:41], v[50:51], 1.0
	v_fmac_f64_e32 v[50:51], v[50:51], v[52:53]
	v_div_scale_f64 v[52:53], vcc, 1.0, v[36:37], 1.0
	v_mul_f64 v[54:55], v[52:53], v[50:51]
	v_fma_f64 v[40:41], -v[40:41], v[54:55], v[52:53]
	s_nop 1
	v_div_fmas_f64 v[40:41], v[40:41], v[50:51], v[54:55]
	v_div_fixup_f64 v[36:37], v[40:41], v[36:37], 1.0
	v_mul_f64 v[50:51], v[38:39], v[36:37]
                                        ; implicit-def: $vgpr38_vgpr39
.LBB21_82:                              ;   in Loop: Header=BB21_62 Depth=3
	s_andn2_saveexec_b64 s[68:69], s[68:69]
	s_cbranch_execz .LBB21_84
; %bb.83:                               ;   in Loop: Header=BB21_62 Depth=3
	v_div_scale_f64 v[36:37], s[70:71], v[42:43], v[42:43], -v[38:39]
	v_rcp_f64_e32 v[40:41], v[36:37]
	v_div_scale_f64 v[50:51], vcc, -v[38:39], v[42:43], -v[38:39]
	v_fma_f64 v[52:53], -v[36:37], v[40:41], 1.0
	v_fmac_f64_e32 v[40:41], v[40:41], v[52:53]
	v_fma_f64 v[52:53], -v[36:37], v[40:41], 1.0
	v_fmac_f64_e32 v[40:41], v[40:41], v[52:53]
	v_mul_f64 v[52:53], v[50:51], v[40:41]
	v_fma_f64 v[36:37], -v[36:37], v[52:53], v[50:51]
	v_div_fmas_f64 v[36:37], v[36:37], v[40:41], v[52:53]
	v_div_fixup_f64 v[36:37], v[36:37], v[42:43], -v[38:39]
	v_fma_f64 v[38:39], v[36:37], v[36:37], 1.0
	v_cmp_gt_f64_e32 vcc, s[30:31], v[38:39]
	v_cndmask_b32_e64 v1, 0, 1, vcc
	v_lshlrev_b32_e32 v1, 8, v1
	v_ldexp_f64 v[38:39], v[38:39], v1
	v_rsq_f64_e32 v[40:41], v[38:39]
	v_cndmask_b32_e32 v1, 0, v61, vcc
	v_cmp_class_f64_e32 vcc, v[38:39], v60
	v_mul_f64 v[50:51], v[38:39], v[40:41]
	v_mul_f64 v[40:41], v[40:41], 0.5
	v_fma_f64 v[52:53], -v[40:41], v[50:51], 0.5
	v_fmac_f64_e32 v[50:51], v[50:51], v[52:53]
	v_fmac_f64_e32 v[40:41], v[40:41], v[52:53]
	v_fma_f64 v[52:53], -v[50:51], v[50:51], v[38:39]
	v_fmac_f64_e32 v[50:51], v[52:53], v[40:41]
	v_fma_f64 v[52:53], -v[50:51], v[50:51], v[38:39]
	v_fmac_f64_e32 v[50:51], v[52:53], v[40:41]
	v_ldexp_f64 v[40:41], v[50:51], v1
	v_cndmask_b32_e32 v39, v41, v39, vcc
	v_cndmask_b32_e32 v38, v40, v38, vcc
	v_div_scale_f64 v[40:41], s[70:71], v[38:39], v[38:39], 1.0
	v_rcp_f64_e32 v[50:51], v[40:41]
	v_fma_f64 v[52:53], -v[40:41], v[50:51], 1.0
	v_fmac_f64_e32 v[50:51], v[50:51], v[52:53]
	v_fma_f64 v[52:53], -v[40:41], v[50:51], 1.0
	v_fmac_f64_e32 v[50:51], v[50:51], v[52:53]
	v_div_scale_f64 v[52:53], vcc, 1.0, v[38:39], 1.0
	v_mul_f64 v[54:55], v[52:53], v[50:51]
	v_fma_f64 v[40:41], -v[40:41], v[54:55], v[52:53]
	s_nop 1
	v_div_fmas_f64 v[40:41], v[40:41], v[50:51], v[54:55]
	v_div_fixup_f64 v[50:51], v[40:41], v[38:39], 1.0
	v_mul_f64 v[36:37], v[36:37], v[50:51]
.LBB21_84:                              ;   in Loop: Header=BB21_62 Depth=3
	s_or_b64 exec, exec, s[68:69]
.LBB21_85:                              ;   in Loop: Header=BB21_62 Depth=3
	s_or_b64 exec, exec, s[66:67]
.LBB21_86:                              ;   in Loop: Header=BB21_62 Depth=3
	s_or_b64 exec, exec, s[8:9]
	global_load_dwordx2 v[38:39], v[44:45], off offset:-8
	v_mov_b32_e32 v1, s49
	v_add_co_u32_e32 v48, vcc, s48, v48
	v_addc_co_u32_e32 v49, vcc, v1, v49, vcc
	v_add_f64 v[40:41], v[36:37], v[36:37]
	v_mov_b32_e32 v3, s51
	v_add_co_u32_e32 v54, vcc, s50, v48
	v_add_u32_e32 v52, -1, v2
	v_addc_co_u32_e32 v55, vcc, v49, v3, vcc
	v_cmp_gt_i32_e32 vcc, v52, v32
	s_waitcnt vmcnt(0)
	v_add_f64 v[38:39], v[38:39], -v[46:47]
	v_mul_f64 v[38:39], v[50:51], v[38:39]
	v_fma_f64 v[38:39], v[42:43], v[40:41], -v[38:39]
	v_mul_f64 v[40:41], v[38:39], -v[50:51]
	v_fma_f64 v[46:47], v[38:39], -v[50:51], v[46:47]
	v_fma_f64 v[38:39], v[36:37], v[38:39], -v[42:43]
	ds_write_b64 v9, v[40:41]
	global_store_dwordx2 v[44:45], v[46:47], off
	global_store_dwordx2 v[48:49], v[36:37], off
	global_store_dwordx2 v[54:55], v[50:51], off offset:-8
	s_and_saveexec_b64 s[8:9], vcc
	s_cbranch_execz .LBB21_102
; %bb.87:                               ;   in Loop: Header=BB21_62 Depth=3
	v_ashrrev_i32_e32 v53, 31, v52
	v_readlane_b32 s72, v72, 25
	v_xor_b32_e32 v51, 0x80000000, v51
	v_lshlrev_b64 v[42:43], 3, v[52:53]
	s_mov_b32 s15, -1
	s_mov_b64 s[66:67], 0
	s_mov_b64 s[68:69], s[54:55]
	;; [unrolled: 1-line block ×3, first 2 shown]
	v_readlane_b32 s73, v72, 26
	s_mov_b64 s[74:75], s[48:49]
	s_branch .LBB21_89
.LBB21_88:                              ;   in Loop: Header=BB21_89 Depth=4
	v_mov_b32_e32 v1, s71
	v_add_co_u32_e32 v66, vcc, s70, v42
	v_addc_co_u32_e32 v67, vcc, v1, v43, vcc
	global_load_dwordx4 v[46:49], v[66:67], off offset:-8
	v_mul_f64 v[36:37], v[36:37], v[44:45]
	v_mov_b32_e32 v1, s75
	v_add_co_u32_e32 v44, vcc, s74, v42
	s_add_u32 s74, s74, -8
	v_addc_co_u32_e32 v45, vcc, v1, v43, vcc
	s_addc_u32 s75, s75, -1
	v_add_co_u32_e32 v68, vcc, s72, v42
	s_add_u32 s72, s72, -8
	v_mov_b32_e32 v3, s73
	s_addc_u32 s73, s73, -1
	s_add_i32 s15, s15, -1
	s_add_u32 s70, s70, -8
	s_addc_u32 s71, s71, -1
	v_add_f64 v[38:39], v[52:53], v[52:53]
	v_addc_co_u32_e32 v69, vcc, v3, v43, vcc
	v_add_u32_e32 v1, s15, v2
	s_add_u32 s68, s68, -8
	v_cmp_le_i32_e32 vcc, v1, v32
	s_addc_u32 s69, s69, -1
	v_xor_b32_e32 v51, 0x80000000, v55
	v_mov_b32_e32 v50, v54
	s_or_b64 s[66:67], vcc, s[66:67]
	s_waitcnt vmcnt(0)
	v_add_f64 v[48:49], v[48:49], -v[40:41]
	v_add_f64 v[40:41], v[46:47], -v[48:49]
	v_mul_f64 v[40:41], v[54:55], v[40:41]
	v_fma_f64 v[38:39], v[36:37], v[38:39], -v[40:41]
	v_mul_f64 v[40:41], v[38:39], -v[54:55]
	v_fma_f64 v[46:47], v[38:39], -v[54:55], v[48:49]
	v_fma_f64 v[38:39], v[52:53], v[38:39], -v[36:37]
	v_pk_mov_b32 v[36:37], v[52:53], v[52:53] op_sel:[0,1]
	global_store_dwordx2 v[66:67], v[46:47], off
	global_store_dwordx2 v[44:45], v[52:53], off
	;; [unrolled: 1-line block ×3, first 2 shown]
	s_andn2_b64 exec, exec, s[66:67]
	s_cbranch_execz .LBB21_101
.LBB21_89:                              ;   Parent Loop BB21_7 Depth=1
                                        ;     Parent Loop BB21_40 Depth=2
                                        ;       Parent Loop BB21_62 Depth=3
                                        ; =>      This Inner Loop Header: Depth=4
	v_mov_b32_e32 v1, s69
	v_add_co_u32_e32 v46, vcc, s68, v42
	v_addc_co_u32_e32 v47, vcc, v1, v43, vcc
	global_load_dwordx2 v[44:45], v[46:47], off
	v_mov_b32_e32 v52, 0
	v_mov_b32_e32 v53, 0x3ff00000
	v_pk_mov_b32 v[54:55], 0, 0
	s_waitcnt vmcnt(0)
	v_mul_f64 v[48:49], v[50:51], v[44:45]
	v_cmp_neq_f64_e32 vcc, 0, v[48:49]
	s_and_saveexec_b64 s[76:77], vcc
	s_cbranch_execz .LBB21_99
; %bb.90:                               ;   in Loop: Header=BB21_89 Depth=4
	v_cmp_neq_f64_e32 vcc, 0, v[38:39]
                                        ; implicit-def: $vgpr54_vgpr55
                                        ; implicit-def: $vgpr52_vgpr53
	s_and_saveexec_b64 s[78:79], vcc
	s_xor_b64 s[78:79], exec, s[78:79]
	s_cbranch_execz .LBB21_96
; %bb.91:                               ;   in Loop: Header=BB21_89 Depth=4
	v_cmp_ngt_f64_e64 s[80:81], |v[48:49]|, |v[38:39]|
                                        ; implicit-def: $vgpr54_vgpr55
                                        ; implicit-def: $vgpr52_vgpr53
	s_and_saveexec_b64 vcc, s[80:81]
	s_xor_b64 s[80:81], exec, vcc
	s_cbranch_execz .LBB21_93
; %bb.92:                               ;   in Loop: Header=BB21_89 Depth=4
	v_div_scale_f64 v[50:51], s[38:39], v[38:39], v[38:39], -v[48:49]
	v_rcp_f64_e32 v[52:53], v[50:51]
	v_div_scale_f64 v[54:55], vcc, -v[48:49], v[38:39], -v[48:49]
	v_fma_f64 v[66:67], -v[50:51], v[52:53], 1.0
	v_fmac_f64_e32 v[52:53], v[52:53], v[66:67]
	v_fma_f64 v[66:67], -v[50:51], v[52:53], 1.0
	v_fmac_f64_e32 v[52:53], v[52:53], v[66:67]
	v_mul_f64 v[66:67], v[54:55], v[52:53]
	v_fma_f64 v[50:51], -v[50:51], v[66:67], v[54:55]
	v_div_fmas_f64 v[50:51], v[50:51], v[52:53], v[66:67]
	v_div_fixup_f64 v[50:51], v[50:51], v[38:39], -v[48:49]
	v_fma_f64 v[52:53], v[50:51], v[50:51], 1.0
	v_cmp_gt_f64_e32 vcc, s[30:31], v[52:53]
	v_cndmask_b32_e64 v1, 0, 1, vcc
	v_lshlrev_b32_e32 v1, 8, v1
	v_ldexp_f64 v[52:53], v[52:53], v1
	v_rsq_f64_e32 v[54:55], v[52:53]
	v_cndmask_b32_e32 v1, 0, v61, vcc
	v_cmp_class_f64_e32 vcc, v[52:53], v60
	v_mul_f64 v[66:67], v[52:53], v[54:55]
	v_mul_f64 v[54:55], v[54:55], 0.5
	v_fma_f64 v[68:69], -v[54:55], v[66:67], 0.5
	v_fmac_f64_e32 v[66:67], v[66:67], v[68:69]
	v_fmac_f64_e32 v[54:55], v[54:55], v[68:69]
	v_fma_f64 v[68:69], -v[66:67], v[66:67], v[52:53]
	v_fmac_f64_e32 v[66:67], v[68:69], v[54:55]
	v_fma_f64 v[68:69], -v[66:67], v[66:67], v[52:53]
	v_fmac_f64_e32 v[66:67], v[68:69], v[54:55]
	v_ldexp_f64 v[54:55], v[66:67], v1
	v_cndmask_b32_e32 v53, v55, v53, vcc
	v_cndmask_b32_e32 v52, v54, v52, vcc
	v_div_scale_f64 v[54:55], s[38:39], v[52:53], v[52:53], 1.0
	v_rcp_f64_e32 v[66:67], v[54:55]
	v_fma_f64 v[68:69], -v[54:55], v[66:67], 1.0
	v_fmac_f64_e32 v[66:67], v[66:67], v[68:69]
	v_fma_f64 v[68:69], -v[54:55], v[66:67], 1.0
	v_fmac_f64_e32 v[66:67], v[66:67], v[68:69]
	v_div_scale_f64 v[68:69], vcc, 1.0, v[52:53], 1.0
	v_mul_f64 v[70:71], v[68:69], v[66:67]
	v_fma_f64 v[54:55], -v[54:55], v[70:71], v[68:69]
	s_nop 1
	v_div_fmas_f64 v[54:55], v[54:55], v[66:67], v[70:71]
	v_div_fixup_f64 v[52:53], v[54:55], v[52:53], 1.0
	v_mul_f64 v[54:55], v[50:51], v[52:53]
.LBB21_93:                              ;   in Loop: Header=BB21_89 Depth=4
	s_andn2_saveexec_b64 s[80:81], s[80:81]
	s_cbranch_execz .LBB21_95
; %bb.94:                               ;   in Loop: Header=BB21_89 Depth=4
	v_div_scale_f64 v[50:51], s[38:39], v[48:49], v[48:49], -v[38:39]
	v_rcp_f64_e32 v[52:53], v[50:51]
	v_div_scale_f64 v[54:55], vcc, -v[38:39], v[48:49], -v[38:39]
	v_fma_f64 v[66:67], -v[50:51], v[52:53], 1.0
	v_fmac_f64_e32 v[52:53], v[52:53], v[66:67]
	v_fma_f64 v[66:67], -v[50:51], v[52:53], 1.0
	v_fmac_f64_e32 v[52:53], v[52:53], v[66:67]
	v_mul_f64 v[66:67], v[54:55], v[52:53]
	v_fma_f64 v[50:51], -v[50:51], v[66:67], v[54:55]
	v_div_fmas_f64 v[50:51], v[50:51], v[52:53], v[66:67]
	v_div_fixup_f64 v[50:51], v[50:51], v[48:49], -v[38:39]
	v_fma_f64 v[52:53], v[50:51], v[50:51], 1.0
	v_cmp_gt_f64_e32 vcc, s[30:31], v[52:53]
	v_cndmask_b32_e64 v1, 0, 1, vcc
	v_lshlrev_b32_e32 v1, 8, v1
	v_ldexp_f64 v[52:53], v[52:53], v1
	v_rsq_f64_e32 v[54:55], v[52:53]
	v_cndmask_b32_e32 v1, 0, v61, vcc
	v_cmp_class_f64_e32 vcc, v[52:53], v60
	v_mul_f64 v[66:67], v[52:53], v[54:55]
	v_mul_f64 v[54:55], v[54:55], 0.5
	v_fma_f64 v[68:69], -v[54:55], v[66:67], 0.5
	v_fmac_f64_e32 v[66:67], v[66:67], v[68:69]
	v_fmac_f64_e32 v[54:55], v[54:55], v[68:69]
	v_fma_f64 v[68:69], -v[66:67], v[66:67], v[52:53]
	v_fmac_f64_e32 v[66:67], v[68:69], v[54:55]
	v_fma_f64 v[68:69], -v[66:67], v[66:67], v[52:53]
	v_fmac_f64_e32 v[66:67], v[68:69], v[54:55]
	v_ldexp_f64 v[54:55], v[66:67], v1
	v_cndmask_b32_e32 v53, v55, v53, vcc
	v_cndmask_b32_e32 v52, v54, v52, vcc
	v_div_scale_f64 v[54:55], s[38:39], v[52:53], v[52:53], 1.0
	v_rcp_f64_e32 v[66:67], v[54:55]
	v_fma_f64 v[68:69], -v[54:55], v[66:67], 1.0
	v_fmac_f64_e32 v[66:67], v[66:67], v[68:69]
	v_fma_f64 v[68:69], -v[54:55], v[66:67], 1.0
	v_fmac_f64_e32 v[66:67], v[66:67], v[68:69]
	v_div_scale_f64 v[68:69], vcc, 1.0, v[52:53], 1.0
	v_mul_f64 v[70:71], v[68:69], v[66:67]
	v_fma_f64 v[54:55], -v[54:55], v[70:71], v[68:69]
	s_nop 1
	v_div_fmas_f64 v[54:55], v[54:55], v[66:67], v[70:71]
	v_div_fixup_f64 v[54:55], v[54:55], v[52:53], 1.0
	v_mul_f64 v[52:53], v[50:51], v[54:55]
.LBB21_95:                              ;   in Loop: Header=BB21_89 Depth=4
	s_or_b64 exec, exec, s[80:81]
	v_mul_f64 v[48:49], v[48:49], v[54:55]
	v_fma_f64 v[38:39], v[38:39], v[52:53], -v[48:49]
                                        ; implicit-def: $vgpr48_vgpr49
.LBB21_96:                              ;   in Loop: Header=BB21_89 Depth=4
	s_andn2_saveexec_b64 s[78:79], s[78:79]
; %bb.97:                               ;   in Loop: Header=BB21_89 Depth=4
	v_xor_b32_e32 v49, 0x80000000, v49
	v_mov_b32_e32 v54, 0
	v_mov_b32_e32 v55, 0x3ff00000
	v_pk_mov_b32 v[52:53], 0, 0
	v_pk_mov_b32 v[38:39], v[48:49], v[48:49] op_sel:[0,1]
; %bb.98:                               ;   in Loop: Header=BB21_89 Depth=4
	s_or_b64 exec, exec, s[78:79]
.LBB21_99:                              ;   in Loop: Header=BB21_89 Depth=4
	s_or_b64 exec, exec, s[76:77]
	s_cmp_eq_u32 s15, 0
	s_cbranch_scc1 .LBB21_88
; %bb.100:                              ;   in Loop: Header=BB21_89 Depth=4
	global_store_dwordx2 v[46:47], v[38:39], off offset:8
	s_branch .LBB21_88
.LBB21_101:                             ;   in Loop: Header=BB21_62 Depth=3
	s_or_b64 exec, exec, s[66:67]
	ds_write_b64 v9, v[40:41]
.LBB21_102:                             ;   in Loop: Header=BB21_62 Depth=3
	s_or_b64 exec, exec, s[8:9]
	global_load_dwordx2 v[42:43], v[34:35], off
.LBB21_103:                             ;   in Loop: Header=BB21_62 Depth=3
	s_or_b64 exec, exec, s[64:65]
	s_waitcnt vmcnt(0)
	v_add_f64 v[2:3], v[42:43], -v[40:41]
	global_store_dwordx2 v[34:35], v[2:3], off
	global_store_dwordx2 v[4:5], v[38:39], off
                                        ; implicit-def: $vgpr36_vgpr37
                                        ; implicit-def: $vgpr34_vgpr35
                                        ; implicit-def: $vgpr32
                                        ; implicit-def: $vgpr42_vgpr43
.LBB21_104:                             ;   in Loop: Header=BB21_62 Depth=3
	s_andn2_saveexec_b64 s[62:63], s[62:63]
	s_cbranch_execz .LBB21_137
; %bb.105:                              ;   in Loop: Header=BB21_62 Depth=3
	v_mov_b32_e32 v1, s7
	v_add_co_u32_e32 v38, vcc, s92, v36
	v_addc_co_u32_e32 v39, vcc, v1, v37, vcc
	global_load_dwordx2 v[2:3], v[34:35], off offset:8
	global_load_dwordx2 v[46:47], v[38:39], off
                                        ; implicit-def: $vgpr48_vgpr49
	s_waitcnt vmcnt(1)
	v_add_f64 v[44:45], v[42:43], -v[2:3]
	s_waitcnt vmcnt(0)
	v_add_f64 v[40:41], v[46:47], v[46:47]
	v_cmp_ngt_f64_e64 s[8:9], |v[44:45]|, |v[40:41]|
	s_and_saveexec_b64 s[64:65], s[8:9]
	s_xor_b64 s[8:9], exec, s[64:65]
	s_cbranch_execz .LBB21_111
; %bb.106:                              ;   in Loop: Header=BB21_62 Depth=3
	v_cmp_nlt_f64_e64 s[64:65], |v[44:45]|, |v[40:41]|
                                        ; implicit-def: $vgpr48_vgpr49
	s_and_saveexec_b64 s[66:67], s[64:65]
	s_xor_b64 s[64:65], exec, s[66:67]
; %bb.107:                              ;   in Loop: Header=BB21_62 Depth=3
	s_mov_b32 s38, 0x667f3bcd
	s_mov_b32 s39, 0x3ff6a09e
	v_mul_f64 v[48:49], |v[40:41]|, s[38:39]
; %bb.108:                              ;   in Loop: Header=BB21_62 Depth=3
	s_andn2_saveexec_b64 s[64:65], s[64:65]
	s_cbranch_execz .LBB21_110
; %bb.109:                              ;   in Loop: Header=BB21_62 Depth=3
	v_and_b32_e32 v5, 0x7fffffff, v45
	v_mov_b32_e32 v4, v44
	v_and_b32_e32 v49, 0x7fffffff, v41
	v_mov_b32_e32 v48, v40
	v_div_scale_f64 v[50:51], s[66:67], v[48:49], v[48:49], v[4:5]
	v_rcp_f64_e32 v[52:53], v[50:51]
	v_div_scale_f64 v[4:5], vcc, v[4:5], v[48:49], v[4:5]
	v_fma_f64 v[54:55], -v[50:51], v[52:53], 1.0
	v_fmac_f64_e32 v[52:53], v[52:53], v[54:55]
	v_fma_f64 v[54:55], -v[50:51], v[52:53], 1.0
	v_fmac_f64_e32 v[52:53], v[52:53], v[54:55]
	v_mul_f64 v[48:49], v[4:5], v[52:53]
	v_fma_f64 v[4:5], -v[50:51], v[48:49], v[4:5]
	v_div_fmas_f64 v[4:5], v[4:5], v[52:53], v[48:49]
	v_div_fixup_f64 v[4:5], v[4:5], |v[40:41]|, |v[44:45]|
	v_fma_f64 v[4:5], v[4:5], v[4:5], 1.0
	v_cmp_gt_f64_e32 vcc, s[30:31], v[4:5]
	v_cndmask_b32_e64 v1, 0, 1, vcc
	v_lshlrev_b32_e32 v1, 8, v1
	v_ldexp_f64 v[4:5], v[4:5], v1
	v_rsq_f64_e32 v[48:49], v[4:5]
	v_cndmask_b32_e32 v1, 0, v61, vcc
	v_cmp_class_f64_e32 vcc, v[4:5], v60
	v_mul_f64 v[50:51], v[4:5], v[48:49]
	v_mul_f64 v[48:49], v[48:49], 0.5
	v_fma_f64 v[52:53], -v[48:49], v[50:51], 0.5
	v_fmac_f64_e32 v[50:51], v[50:51], v[52:53]
	v_fma_f64 v[54:55], -v[50:51], v[50:51], v[4:5]
	v_fmac_f64_e32 v[48:49], v[48:49], v[52:53]
	v_fmac_f64_e32 v[50:51], v[54:55], v[48:49]
	v_fma_f64 v[52:53], -v[50:51], v[50:51], v[4:5]
	v_fmac_f64_e32 v[50:51], v[52:53], v[48:49]
	v_ldexp_f64 v[48:49], v[50:51], v1
	v_cndmask_b32_e32 v5, v49, v5, vcc
	v_cndmask_b32_e32 v4, v48, v4, vcc
	v_mul_f64 v[48:49], |v[40:41]|, v[4:5]
.LBB21_110:                             ;   in Loop: Header=BB21_62 Depth=3
	s_or_b64 exec, exec, s[64:65]
.LBB21_111:                             ;   in Loop: Header=BB21_62 Depth=3
	s_andn2_saveexec_b64 s[8:9], s[8:9]
	s_cbranch_execz .LBB21_113
; %bb.112:                              ;   in Loop: Header=BB21_62 Depth=3
	v_and_b32_e32 v5, 0x7fffffff, v41
	v_mov_b32_e32 v4, v40
	v_and_b32_e32 v49, 0x7fffffff, v45
	v_mov_b32_e32 v48, v44
	v_div_scale_f64 v[50:51], s[64:65], v[48:49], v[48:49], v[4:5]
	v_rcp_f64_e32 v[52:53], v[50:51]
	v_div_scale_f64 v[4:5], vcc, v[4:5], v[48:49], v[4:5]
	v_fma_f64 v[54:55], -v[50:51], v[52:53], 1.0
	v_fmac_f64_e32 v[52:53], v[52:53], v[54:55]
	v_fma_f64 v[54:55], -v[50:51], v[52:53], 1.0
	v_fmac_f64_e32 v[52:53], v[52:53], v[54:55]
	v_mul_f64 v[48:49], v[4:5], v[52:53]
	v_fma_f64 v[4:5], -v[50:51], v[48:49], v[4:5]
	v_div_fmas_f64 v[4:5], v[4:5], v[52:53], v[48:49]
	v_div_fixup_f64 v[4:5], v[4:5], |v[44:45]|, |v[40:41]|
	v_fma_f64 v[4:5], v[4:5], v[4:5], 1.0
	v_cmp_gt_f64_e32 vcc, s[30:31], v[4:5]
	v_cndmask_b32_e64 v1, 0, 1, vcc
	v_lshlrev_b32_e32 v1, 8, v1
	v_ldexp_f64 v[4:5], v[4:5], v1
	v_rsq_f64_e32 v[48:49], v[4:5]
	v_cndmask_b32_e32 v1, 0, v61, vcc
	v_cmp_class_f64_e32 vcc, v[4:5], v60
	v_mul_f64 v[50:51], v[4:5], v[48:49]
	v_mul_f64 v[48:49], v[48:49], 0.5
	v_fma_f64 v[52:53], -v[48:49], v[50:51], 0.5
	v_fmac_f64_e32 v[50:51], v[50:51], v[52:53]
	v_fma_f64 v[54:55], -v[50:51], v[50:51], v[4:5]
	v_fmac_f64_e32 v[48:49], v[48:49], v[52:53]
	v_fmac_f64_e32 v[50:51], v[54:55], v[48:49]
	v_fma_f64 v[52:53], -v[50:51], v[50:51], v[4:5]
	v_fmac_f64_e32 v[50:51], v[52:53], v[48:49]
	v_ldexp_f64 v[48:49], v[50:51], v1
	v_cndmask_b32_e32 v5, v49, v5, vcc
	v_cndmask_b32_e32 v4, v48, v4, vcc
	v_mul_f64 v[48:49], |v[44:45]|, v[4:5]
.LBB21_113:                             ;   in Loop: Header=BB21_62 Depth=3
	s_or_b64 exec, exec, s[8:9]
	v_add_f64 v[52:53], v[42:43], v[2:3]
	v_cmp_gt_f64_e64 vcc, |v[42:43]|, |v[2:3]|
	v_cndmask_b32_e32 v51, v43, v3, vcc
	v_cndmask_b32_e32 v50, v42, v2, vcc
	;; [unrolled: 1-line block ×4, first 2 shown]
	v_cmp_ngt_f64_e32 vcc, 0, v[52:53]
                                        ; implicit-def: $vgpr1
                                        ; implicit-def: $vgpr4_vgpr5
	s_and_saveexec_b64 s[8:9], vcc
	s_xor_b64 s[8:9], exec, s[8:9]
	s_cbranch_execz .LBB21_119
; %bb.114:                              ;   in Loop: Header=BB21_62 Depth=3
	v_cmp_nlt_f64_e32 vcc, 0, v[52:53]
                                        ; implicit-def: $sgpr15
                                        ; implicit-def: $vgpr4_vgpr5
	s_and_saveexec_b64 s[64:65], vcc
	s_xor_b64 s[64:65], exec, s[64:65]
; %bb.115:                              ;   in Loop: Header=BB21_62 Depth=3
	v_mul_f64 v[2:3], v[48:49], 0.5
	v_mul_f64 v[4:5], v[48:49], -0.5
	s_mov_b32 s15, 1
                                        ; implicit-def: $vgpr52_vgpr53
                                        ; implicit-def: $vgpr42_vgpr43
                                        ; implicit-def: $vgpr46_vgpr47
                                        ; implicit-def: $vgpr50_vgpr51
; %bb.116:                              ;   in Loop: Header=BB21_62 Depth=3
	s_or_saveexec_b64 s[64:65], s[64:65]
	v_mov_b32_e32 v1, s15
	s_xor_b64 exec, exec, s[64:65]
	s_cbranch_execz .LBB21_118
; %bb.117:                              ;   in Loop: Header=BB21_62 Depth=3
	v_add_f64 v[2:3], v[52:53], v[48:49]
	v_mul_f64 v[2:3], v[2:3], 0.5
	v_div_scale_f64 v[4:5], s[66:67], v[2:3], v[2:3], v[42:43]
	v_rcp_f64_e32 v[52:53], v[4:5]
	v_div_scale_f64 v[54:55], vcc, v[42:43], v[2:3], v[42:43]
	v_mov_b32_e32 v1, 1
	v_fma_f64 v[66:67], -v[4:5], v[52:53], 1.0
	v_fmac_f64_e32 v[52:53], v[52:53], v[66:67]
	v_fma_f64 v[66:67], -v[4:5], v[52:53], 1.0
	v_fmac_f64_e32 v[52:53], v[52:53], v[66:67]
	v_mul_f64 v[66:67], v[54:55], v[52:53]
	v_fma_f64 v[4:5], -v[4:5], v[66:67], v[54:55]
	v_div_scale_f64 v[54:55], s[66:67], v[2:3], v[2:3], v[46:47]
	v_rcp_f64_e32 v[68:69], v[54:55]
	v_div_fmas_f64 v[4:5], v[4:5], v[52:53], v[66:67]
	v_div_fixup_f64 v[4:5], v[4:5], v[2:3], v[42:43]
	v_fma_f64 v[42:43], -v[54:55], v[68:69], 1.0
	v_fmac_f64_e32 v[68:69], v[68:69], v[42:43]
	v_fma_f64 v[42:43], -v[54:55], v[68:69], 1.0
	v_fmac_f64_e32 v[68:69], v[68:69], v[42:43]
	v_div_scale_f64 v[42:43], vcc, v[46:47], v[2:3], v[46:47]
	v_mul_f64 v[52:53], v[42:43], v[68:69]
	v_fma_f64 v[42:43], -v[54:55], v[52:53], v[42:43]
	s_nop 1
	v_div_fmas_f64 v[42:43], v[42:43], v[68:69], v[52:53]
	v_div_fixup_f64 v[42:43], v[42:43], v[2:3], v[46:47]
	v_mul_f64 v[42:43], v[46:47], v[42:43]
	v_fma_f64 v[4:5], v[50:51], v[4:5], -v[42:43]
.LBB21_118:                             ;   in Loop: Header=BB21_62 Depth=3
	s_or_b64 exec, exec, s[64:65]
                                        ; implicit-def: $vgpr52_vgpr53
                                        ; implicit-def: $vgpr42_vgpr43
                                        ; implicit-def: $vgpr46_vgpr47
                                        ; implicit-def: $vgpr50_vgpr51
.LBB21_119:                             ;   in Loop: Header=BB21_62 Depth=3
	s_andn2_saveexec_b64 s[8:9], s[8:9]
	s_cbranch_execz .LBB21_121
; %bb.120:                              ;   in Loop: Header=BB21_62 Depth=3
	v_add_f64 v[2:3], v[52:53], -v[48:49]
	v_mul_f64 v[2:3], v[2:3], 0.5
	v_div_scale_f64 v[4:5], s[64:65], v[2:3], v[2:3], v[42:43]
	v_rcp_f64_e32 v[52:53], v[4:5]
	v_div_scale_f64 v[54:55], vcc, v[42:43], v[2:3], v[42:43]
	v_mov_b32_e32 v1, -1
	v_fma_f64 v[66:67], -v[4:5], v[52:53], 1.0
	v_fmac_f64_e32 v[52:53], v[52:53], v[66:67]
	v_fma_f64 v[66:67], -v[4:5], v[52:53], 1.0
	v_fmac_f64_e32 v[52:53], v[52:53], v[66:67]
	v_mul_f64 v[66:67], v[54:55], v[52:53]
	v_fma_f64 v[4:5], -v[4:5], v[66:67], v[54:55]
	v_div_scale_f64 v[54:55], s[64:65], v[2:3], v[2:3], v[46:47]
	v_rcp_f64_e32 v[68:69], v[54:55]
	v_div_fmas_f64 v[4:5], v[4:5], v[52:53], v[66:67]
	v_div_fixup_f64 v[4:5], v[4:5], v[2:3], v[42:43]
	v_fma_f64 v[42:43], -v[54:55], v[68:69], 1.0
	v_fmac_f64_e32 v[68:69], v[68:69], v[42:43]
	v_fma_f64 v[42:43], -v[54:55], v[68:69], 1.0
	v_fmac_f64_e32 v[68:69], v[68:69], v[42:43]
	v_div_scale_f64 v[42:43], vcc, v[46:47], v[2:3], v[46:47]
	v_mul_f64 v[52:53], v[42:43], v[68:69]
	v_fma_f64 v[42:43], -v[54:55], v[52:53], v[42:43]
	s_nop 1
	v_div_fmas_f64 v[42:43], v[42:43], v[68:69], v[52:53]
	v_div_fixup_f64 v[42:43], v[42:43], v[2:3], v[46:47]
	v_mul_f64 v[42:43], v[46:47], v[42:43]
	v_fma_f64 v[4:5], v[50:51], v[4:5], -v[42:43]
.LBB21_121:                             ;   in Loop: Header=BB21_62 Depth=3
	s_or_b64 exec, exec, s[8:9]
	v_xor_b32_e32 v8, 0x80000000, v49
	v_cmp_nle_f64_e64 s[8:9], 0, v[44:45]
	v_cndmask_b32_e64 v43, v49, v8, s[8:9]
	v_cndmask_b32_e64 v42, v48, v48, s[8:9]
	v_add_f64 v[42:43], v[44:45], v[42:43]
	v_cmp_ngt_f64_e64 s[64:65], |v[42:43]|, |v[40:41]|
                                        ; implicit-def: $vgpr44_vgpr45
                                        ; implicit-def: $vgpr46_vgpr47
	s_and_saveexec_b64 s[66:67], s[64:65]
	s_xor_b64 s[64:65], exec, s[66:67]
	s_cbranch_execz .LBB21_125
; %bb.122:                              ;   in Loop: Header=BB21_62 Depth=3
	v_mov_b32_e32 v44, 0
	v_cmp_neq_f64_e32 vcc, 0, v[40:41]
	v_mov_b32_e32 v45, 0x3ff00000
	v_pk_mov_b32 v[46:47], 0, 0
	s_and_saveexec_b64 s[66:67], vcc
	s_cbranch_execz .LBB21_124
; %bb.123:                              ;   in Loop: Header=BB21_62 Depth=3
	v_div_scale_f64 v[44:45], s[68:69], v[40:41], v[40:41], -v[42:43]
	v_rcp_f64_e32 v[46:47], v[44:45]
	v_div_scale_f64 v[48:49], vcc, -v[42:43], v[40:41], -v[42:43]
	v_fma_f64 v[50:51], -v[44:45], v[46:47], 1.0
	v_fmac_f64_e32 v[46:47], v[46:47], v[50:51]
	v_fma_f64 v[50:51], -v[44:45], v[46:47], 1.0
	v_fmac_f64_e32 v[46:47], v[46:47], v[50:51]
	v_mul_f64 v[50:51], v[48:49], v[46:47]
	v_fma_f64 v[44:45], -v[44:45], v[50:51], v[48:49]
	v_div_fmas_f64 v[44:45], v[44:45], v[46:47], v[50:51]
	v_div_fixup_f64 v[40:41], v[44:45], v[40:41], -v[42:43]
	v_fma_f64 v[42:43], v[40:41], v[40:41], 1.0
	v_cmp_gt_f64_e32 vcc, s[30:31], v[42:43]
	v_cndmask_b32_e64 v8, 0, 1, vcc
	v_lshlrev_b32_e32 v8, 8, v8
	v_ldexp_f64 v[42:43], v[42:43], v8
	v_rsq_f64_e32 v[44:45], v[42:43]
	v_cndmask_b32_e32 v8, 0, v61, vcc
	v_cmp_class_f64_e32 vcc, v[42:43], v60
	v_mul_f64 v[46:47], v[42:43], v[44:45]
	v_mul_f64 v[44:45], v[44:45], 0.5
	v_fma_f64 v[48:49], -v[44:45], v[46:47], 0.5
	v_fmac_f64_e32 v[46:47], v[46:47], v[48:49]
	v_fmac_f64_e32 v[44:45], v[44:45], v[48:49]
	v_fma_f64 v[48:49], -v[46:47], v[46:47], v[42:43]
	v_fmac_f64_e32 v[46:47], v[48:49], v[44:45]
	v_fma_f64 v[48:49], -v[46:47], v[46:47], v[42:43]
	v_fmac_f64_e32 v[46:47], v[48:49], v[44:45]
	v_ldexp_f64 v[44:45], v[46:47], v8
	v_cndmask_b32_e32 v43, v45, v43, vcc
	v_cndmask_b32_e32 v42, v44, v42, vcc
	v_div_scale_f64 v[44:45], s[68:69], v[42:43], v[42:43], 1.0
	v_rcp_f64_e32 v[46:47], v[44:45]
	v_fma_f64 v[48:49], -v[44:45], v[46:47], 1.0
	v_fmac_f64_e32 v[46:47], v[46:47], v[48:49]
	v_fma_f64 v[48:49], -v[44:45], v[46:47], 1.0
	v_fmac_f64_e32 v[46:47], v[46:47], v[48:49]
	v_div_scale_f64 v[48:49], vcc, 1.0, v[42:43], 1.0
	v_mul_f64 v[50:51], v[48:49], v[46:47]
	v_fma_f64 v[44:45], -v[44:45], v[50:51], v[48:49]
	s_nop 1
	v_div_fmas_f64 v[44:45], v[44:45], v[46:47], v[50:51]
	v_div_fixup_f64 v[44:45], v[44:45], v[42:43], 1.0
	v_mul_f64 v[46:47], v[40:41], v[44:45]
.LBB21_124:                             ;   in Loop: Header=BB21_62 Depth=3
	s_or_b64 exec, exec, s[66:67]
                                        ; implicit-def: $vgpr42_vgpr43
                                        ; implicit-def: $vgpr40_vgpr41
.LBB21_125:                             ;   in Loop: Header=BB21_62 Depth=3
	s_andn2_saveexec_b64 s[64:65], s[64:65]
	s_cbranch_execz .LBB21_127
; %bb.126:                              ;   in Loop: Header=BB21_62 Depth=3
	v_div_scale_f64 v[44:45], s[66:67], v[42:43], v[42:43], -v[40:41]
	v_rcp_f64_e32 v[46:47], v[44:45]
	v_div_scale_f64 v[48:49], vcc, -v[40:41], v[42:43], -v[40:41]
	v_fma_f64 v[50:51], -v[44:45], v[46:47], 1.0
	v_fmac_f64_e32 v[46:47], v[46:47], v[50:51]
	v_fma_f64 v[50:51], -v[44:45], v[46:47], 1.0
	v_fmac_f64_e32 v[46:47], v[46:47], v[50:51]
	v_mul_f64 v[50:51], v[48:49], v[46:47]
	v_fma_f64 v[44:45], -v[44:45], v[50:51], v[48:49]
	v_div_fmas_f64 v[44:45], v[44:45], v[46:47], v[50:51]
	v_div_fixup_f64 v[40:41], v[44:45], v[42:43], -v[40:41]
	v_fma_f64 v[42:43], v[40:41], v[40:41], 1.0
	v_cmp_gt_f64_e32 vcc, s[30:31], v[42:43]
	v_cndmask_b32_e64 v8, 0, 1, vcc
	v_lshlrev_b32_e32 v8, 8, v8
	v_ldexp_f64 v[42:43], v[42:43], v8
	v_rsq_f64_e32 v[44:45], v[42:43]
	v_cndmask_b32_e32 v8, 0, v61, vcc
	v_cmp_class_f64_e32 vcc, v[42:43], v60
	v_mul_f64 v[46:47], v[42:43], v[44:45]
	v_mul_f64 v[44:45], v[44:45], 0.5
	v_fma_f64 v[48:49], -v[44:45], v[46:47], 0.5
	v_fmac_f64_e32 v[46:47], v[46:47], v[48:49]
	v_fmac_f64_e32 v[44:45], v[44:45], v[48:49]
	v_fma_f64 v[48:49], -v[46:47], v[46:47], v[42:43]
	v_fmac_f64_e32 v[46:47], v[48:49], v[44:45]
	v_fma_f64 v[48:49], -v[46:47], v[46:47], v[42:43]
	v_fmac_f64_e32 v[46:47], v[48:49], v[44:45]
	v_ldexp_f64 v[44:45], v[46:47], v8
	v_cndmask_b32_e32 v43, v45, v43, vcc
	v_cndmask_b32_e32 v42, v44, v42, vcc
	v_div_scale_f64 v[44:45], s[66:67], v[42:43], v[42:43], 1.0
	v_rcp_f64_e32 v[46:47], v[44:45]
	v_fma_f64 v[48:49], -v[44:45], v[46:47], 1.0
	v_fmac_f64_e32 v[46:47], v[46:47], v[48:49]
	v_fma_f64 v[48:49], -v[44:45], v[46:47], 1.0
	v_fmac_f64_e32 v[46:47], v[46:47], v[48:49]
	v_div_scale_f64 v[48:49], vcc, 1.0, v[42:43], 1.0
	v_mul_f64 v[50:51], v[48:49], v[46:47]
	v_fma_f64 v[44:45], -v[44:45], v[50:51], v[48:49]
	s_nop 1
	v_div_fmas_f64 v[44:45], v[44:45], v[46:47], v[50:51]
	v_div_fixup_f64 v[46:47], v[44:45], v[42:43], 1.0
	v_mul_f64 v[44:45], v[40:41], v[46:47]
.LBB21_127:                             ;   in Loop: Header=BB21_62 Depth=3
	s_or_b64 exec, exec, s[64:65]
	v_cndmask_b32_e64 v8, 1, -1, s[8:9]
	v_xor_b32_e32 v33, 0x80000000, v47
	v_cmp_eq_u32_e32 vcc, v1, v8
	v_cndmask_b32_e32 v41, v47, v45, vcc
	v_cndmask_b32_e32 v40, v46, v44, vcc
	;; [unrolled: 1-line block ×4, first 2 shown]
	v_mov_b32_e32 v1, s47
	v_add_co_u32_e32 v36, vcc, s46, v36
	v_addc_co_u32_e32 v37, vcc, v1, v37, vcc
	global_store_dwordx2 v[36:37], v[42:43], off
	v_mov_b32_e32 v1, s51
	v_add_co_u32_e32 v36, vcc, s50, v36
	v_addc_co_u32_e32 v37, vcc, v37, v1, vcc
	v_mov_b32_e32 v8, v9
	v_add_u32_e32 v1, 2, v32
	global_store_dwordx2 v[36:37], v[40:41], off offset:-8
	global_store_dwordx4 v[34:35], v[2:5], off
	global_store_dwordx2 v[38:39], v[8:9], off
	ds_write_b32 v9, v1 offset:16
	s_or_b64 exec, exec, s[62:63]
                                        ; implicit-def: $vgpr1
.LBB21_128:                             ;   in Loop: Header=BB21_62 Depth=3
	s_andn2_saveexec_b64 s[8:9], s[60:61]
	s_cbranch_execz .LBB21_130
.LBB21_129:                             ;   in Loop: Header=BB21_62 Depth=3
	ds_write_b32 v9, v1 offset:16
.LBB21_130:                             ;   in Loop: Header=BB21_62 Depth=3
	s_or_b64 exec, exec, s[8:9]
.LBB21_131:                             ;   in Loop: Header=BB21_62 Depth=3
	s_or_b64 exec, exec, s[58:59]
	s_waitcnt lgkmcnt(0)
	s_barrier
	ds_read_b64 v[2:3], v9 offset:16
	s_waitcnt lgkmcnt(0)
	v_readfirstlane_b32 s8, v3
	v_cmp_eq_u32_e32 vcc, s8, v2
	v_mov_b32_e32 v32, s8
	s_cbranch_vccnz .LBB21_61
; %bb.132:                              ;   in Loop: Header=BB21_62 Depth=3
	s_and_saveexec_b64 s[58:59], s[2:3]
	s_cbranch_execz .LBB21_60
; %bb.133:                              ;   in Loop: Header=BB21_62 Depth=3
	ds_read_b32 v2, v9 offset:28
	v_mov_b32_e32 v8, s87
	s_mov_b64 s[62:63], 0
	s_waitcnt lgkmcnt(0)
	v_mul_lo_u32 v4, v2, s23
	v_readfirstlane_b32 s9, v2
	v_ashrrev_i32_e32 v5, 31, v4
	s_sub_i32 s15, s8, s9
	v_lshlrev_b64 v[4:5], 3, v[4:5]
	s_mul_hi_i32 s9, s15, s18
	s_mul_i32 s8, s15, s18
	v_add_co_u32_e32 v1, vcc, s90, v4
	s_lshl_b64 s[8:9], s[8:9], 3
	v_addc_co_u32_e32 v40, vcc, v8, v5, vcc
	s_cmp_gt_i32 s15, 0
	v_ashrrev_i32_e32 v3, 31, v2
	v_mov_b32_e32 v8, s9
	v_add_co_u32_e32 v41, vcc, s8, v1
	s_cselect_b64 s[60:61], -1, 0
	s_add_i32 s16, s15, -1
	v_addc_co_u32_e32 v42, vcc, v40, v8, vcc
	v_lshlrev_b64 v[2:3], 3, v[2:3]
	s_lshl_b64 s[8:9], s[16:17], 3
	v_mov_b32_e32 v8, s9
	v_add_co_u32_e32 v2, vcc, s8, v2
	v_addc_co_u32_e32 v3, vcc, v3, v8, vcc
	v_mov_b32_e32 v8, s56
	v_add_co_u32_e32 v2, vcc, s53, v2
	s_mul_i32 s8, s21, s16
	s_mul_hi_u32 s9, s20, s16
	v_addc_co_u32_e32 v3, vcc, v8, v3, vcc
	s_add_i32 s8, s9, s8
	s_mul_i32 s9, s20, s16
	v_mov_b32_e32 v8, s8
	v_add_co_u32_e32 v4, vcc, s9, v4
	v_addc_co_u32_e32 v5, vcc, v8, v5, vcc
	v_add_co_u32_e32 v4, vcc, v63, v4
	v_addc_co_u32_e32 v5, vcc, v64, v5, vcc
	v_mov_b32_e32 v8, v0
	s_branch .LBB21_135
.LBB21_134:                             ;   in Loop: Header=BB21_135 Depth=4
	v_add_u32_e32 v8, s89, v8
	v_cmp_le_i32_e32 vcc, s40, v8
	s_waitcnt vmcnt(0) lgkmcnt(0)
	flat_store_dwordx2 v[32:33], v[38:39]
	v_mov_b32_e32 v32, s93
	s_or_b64 s[62:63], vcc, s[62:63]
	v_add_co_u32_e32 v4, vcc, s95, v4
	v_addc_co_u32_e32 v5, vcc, v5, v32, vcc
	s_andn2_b64 exec, exec, s[62:63]
	s_cbranch_execz .LBB21_60
.LBB21_135:                             ;   Parent Loop BB21_7 Depth=1
                                        ;     Parent Loop BB21_40 Depth=2
                                        ;       Parent Loop BB21_62 Depth=3
                                        ; =>      This Loop Header: Depth=4
                                        ;           Child Loop BB21_136 Depth 5
	v_lshlrev_b64 v[32:33], 3, v[8:9]
	v_add_co_u32_e32 v34, vcc, v41, v32
	v_addc_co_u32_e32 v35, vcc, v42, v33, vcc
	flat_load_dwordx2 v[38:39], v[34:35]
	v_add_co_u32_e32 v32, vcc, v1, v32
	v_addc_co_u32_e32 v33, vcc, v40, v33, vcc
	s_andn2_b64 vcc, exec, s[60:61]
	v_pk_mov_b32 v[34:35], v[4:5], v[4:5] op_sel:[0,1]
	v_pk_mov_b32 v[36:37], v[2:3], v[2:3] op_sel:[0,1]
	s_mov_b32 s8, s15
	s_cbranch_vccnz .LBB21_134
.LBB21_136:                             ;   Parent Loop BB21_7 Depth=1
                                        ;     Parent Loop BB21_40 Depth=2
                                        ;       Parent Loop BB21_62 Depth=3
                                        ;         Parent Loop BB21_135 Depth=4
                                        ; =>        This Inner Loop Header: Depth=5
	v_mov_b32_e32 v43, s52
	v_add_co_u32_e32 v46, vcc, s41, v36
	v_addc_co_u32_e32 v47, vcc, v37, v43, vcc
	flat_load_dwordx2 v[44:45], v[34:35]
	s_nop 0
	global_load_dwordx2 v[46:47], v[46:47], off
	s_nop 0
	global_load_dwordx2 v[48:49], v[36:37], off
	s_mul_i32 s37, s8, s19
	s_mul_hi_u32 s39, s8, s18
	s_waitcnt vmcnt(0) lgkmcnt(0)
	v_pk_mov_b32 v[50:51], v[38:39], v[38:39] op_sel:[0,1]
	s_mul_i32 s38, s8, s18
	v_mov_b32_e32 v38, s91
	v_add_co_u32_e32 v34, vcc, s94, v34
	s_add_i32 s39, s39, s37
	v_addc_co_u32_e32 v35, vcc, v35, v38, vcc
	s_lshl_b64 s[38:39], s[38:39], 3
	s_add_i32 s16, s8, -1
	v_add_co_u32_e64 v36, s[8:9], -8, v36
	v_mov_b32_e32 v38, s39
	v_add_co_u32_e32 v52, vcc, s38, v32
	v_addc_co_u32_e64 v37, s[8:9], -1, v37, s[8:9]
	v_addc_co_u32_e32 v53, vcc, v33, v38, vcc
	s_mov_b32 s8, s16
	s_cmp_eq_u32 s16, 0
	v_mul_f64 v[38:39], v[48:49], v[44:45]
	v_mul_f64 v[44:45], v[46:47], v[44:45]
	v_fmac_f64_e32 v[38:39], v[50:51], v[46:47]
	v_fma_f64 v[44:45], v[50:51], v[48:49], -v[44:45]
	flat_store_dwordx2 v[52:53], v[44:45]
	s_cbranch_scc0 .LBB21_136
	s_branch .LBB21_134
.LBB21_137:                             ;   in Loop: Header=BB21_62 Depth=3
	s_or_b64 exec, exec, s[62:63]
                                        ; implicit-def: $vgpr1
	s_andn2_saveexec_b64 s[8:9], s[60:61]
	s_cbranch_execnz .LBB21_129
	s_branch .LBB21_130
.LBB21_138:                             ;   in Loop: Header=BB21_40 Depth=2
	v_pk_mov_b32 v[30:31], v[22:23], v[22:23] op_sel:[0,1]
	v_pk_mov_b32 v[26:27], v[20:21], v[20:21] op_sel:[0,1]
	v_mov_b32_e32 v25, v65
	s_branch .LBB21_157
.LBB21_139:                             ;   in Loop: Header=BB21_40 Depth=2
                                        ; implicit-def: $vgpr30_vgpr31
                                        ; implicit-def: $vgpr26_vgpr27
                                        ; implicit-def: $vgpr25
.LBB21_140:                             ;   in Loop: Header=BB21_40 Depth=2
	s_and_b64 vcc, exec, s[4:5]
	s_cbranch_vccz .LBB21_161
.LBB21_141:                             ;   in Loop: Header=BB21_40 Depth=2
	v_mov_b32_e32 v25, v65
	v_pk_mov_b32 v[26:27], v[20:21], v[20:21] op_sel:[0,1]
	v_pk_mov_b32 v[30:31], v[22:23], v[22:23] op_sel:[0,1]
.LBB21_142:                             ;   in Loop: Header=BB21_40 Depth=2
	s_barrier
	ds_read_b64 v[2:3], v9 offset:8
	s_waitcnt lgkmcnt(0)
	v_cmp_nlt_f64_e32 vcc, s[28:29], v[2:3]
	s_cbranch_vccnz .LBB21_149
; %bb.143:                              ;   in Loop: Header=BB21_40 Depth=2
	v_div_scale_f64 v[20:21], s[4:5], v[2:3], v[2:3], s[28:29]
	v_rcp_f64_e32 v[22:23], v[20:21]
	ds_read2_b32 v[4:5], v9 offset0:7 offset1:10
	v_fma_f64 v[28:29], -v[20:21], v[22:23], 1.0
	v_fmac_f64_e32 v[22:23], v[22:23], v[28:29]
	v_fma_f64 v[28:29], -v[20:21], v[22:23], 1.0
	v_fmac_f64_e32 v[22:23], v[22:23], v[28:29]
	v_div_scale_f64 v[28:29], vcc, s[28:29], v[2:3], s[28:29]
	v_mul_f64 v[32:33], v[28:29], v[22:23]
	v_fma_f64 v[20:21], -v[20:21], v[32:33], v[28:29]
	s_nop 1
	v_div_fmas_f64 v[20:21], v[20:21], v[22:23], v[32:33]
	v_div_fixup_f64 v[20:21], v[20:21], v[2:3], s[28:29]
	s_and_saveexec_b64 s[4:5], s[0:1]
	s_cbranch_execz .LBB21_145
; %bb.144:                              ;   in Loop: Header=BB21_40 Depth=2
	s_waitcnt lgkmcnt(0)
	v_ashrrev_i32_e32 v23, 31, v5
	v_mov_b32_e32 v22, v5
	v_lshlrev_b64 v[22:23], 3, v[22:23]
	v_mov_b32_e32 v1, s45
	v_add_co_u32_e32 v22, vcc, s44, v22
	v_addc_co_u32_e32 v23, vcc, v1, v23, vcc
	global_load_dwordx2 v[28:29], v[22:23], off
	s_waitcnt vmcnt(0)
	v_mul_f64 v[28:29], v[20:21], v[28:29]
	global_store_dwordx2 v[22:23], v[28:29], off
.LBB21_145:                             ;   in Loop: Header=BB21_40 Depth=2
	s_or_b64 exec, exec, s[4:5]
	s_waitcnt lgkmcnt(0)
	v_add_u32_e32 v22, v4, v0
	v_cmp_lt_i32_e32 vcc, v22, v5
	s_and_saveexec_b64 s[4:5], vcc
	s_cbranch_execz .LBB21_148
; %bb.146:                              ;   in Loop: Header=BB21_40 Depth=2
	v_ashrrev_i32_e32 v23, 31, v22
	v_lshlrev_b64 v[28:29], 3, v[22:23]
	v_mov_b32_e32 v1, s43
	v_add_co_u32_e32 v4, vcc, s42, v28
	v_addc_co_u32_e32 v1, vcc, v1, v29, vcc
	s_mov_b64 s[8:9], 0
.LBB21_147:                             ;   Parent Loop BB21_7 Depth=1
                                        ;     Parent Loop BB21_40 Depth=2
                                        ; =>    This Inner Loop Header: Depth=3
	v_mov_b32_e32 v8, s84
	v_add_co_u32_e32 v28, vcc, s83, v4
	v_addc_co_u32_e32 v29, vcc, v8, v1, vcc
	global_load_dwordx2 v[32:33], v[28:29], off
	v_mov_b32_e32 v8, s86
	v_add_co_u32_e32 v34, vcc, s85, v4
	v_addc_co_u32_e32 v35, vcc, v8, v1, vcc
	v_mov_b32_e32 v8, s93
	v_add_co_u32_e32 v4, vcc, s95, v4
	v_add_u32_e32 v22, s89, v22
	v_addc_co_u32_e32 v1, vcc, v1, v8, vcc
	v_cmp_ge_i32_e32 vcc, v22, v5
	s_or_b64 s[8:9], vcc, s[8:9]
	s_waitcnt vmcnt(0)
	v_mul_f64 v[32:33], v[20:21], v[32:33]
	global_store_dwordx2 v[28:29], v[32:33], off
	global_load_dwordx2 v[28:29], v[34:35], off
	s_waitcnt vmcnt(0)
	v_mul_f64 v[28:29], v[20:21], v[28:29]
	global_store_dwordx2 v[34:35], v[28:29], off
	s_andn2_b64 exec, exec, s[8:9]
	s_cbranch_execnz .LBB21_147
.LBB21_148:                             ;   in Loop: Header=BB21_40 Depth=2
	s_or_b64 exec, exec, s[4:5]
.LBB21_149:                             ;   in Loop: Header=BB21_40 Depth=2
	v_cmp_ngt_f64_e32 vcc, s[26:27], v[2:3]
	s_cbranch_vccnz .LBB21_156
; %bb.150:                              ;   in Loop: Header=BB21_40 Depth=2
	v_div_scale_f64 v[20:21], s[4:5], v[2:3], v[2:3], s[26:27]
	v_rcp_f64_e32 v[22:23], v[20:21]
	ds_read2_b32 v[4:5], v9 offset0:7 offset1:10
	v_fma_f64 v[28:29], -v[20:21], v[22:23], 1.0
	v_fmac_f64_e32 v[22:23], v[22:23], v[28:29]
	v_fma_f64 v[28:29], -v[20:21], v[22:23], 1.0
	v_fmac_f64_e32 v[22:23], v[22:23], v[28:29]
	v_div_scale_f64 v[28:29], vcc, s[26:27], v[2:3], s[26:27]
	v_mul_f64 v[32:33], v[28:29], v[22:23]
	v_fma_f64 v[20:21], -v[20:21], v[32:33], v[28:29]
	s_nop 1
	v_div_fmas_f64 v[20:21], v[20:21], v[22:23], v[32:33]
	v_div_fixup_f64 v[2:3], v[20:21], v[2:3], s[26:27]
	s_and_saveexec_b64 s[4:5], s[0:1]
	s_cbranch_execz .LBB21_152
; %bb.151:                              ;   in Loop: Header=BB21_40 Depth=2
	s_waitcnt lgkmcnt(0)
	v_ashrrev_i32_e32 v21, 31, v5
	v_mov_b32_e32 v20, v5
	v_lshlrev_b64 v[20:21], 3, v[20:21]
	v_mov_b32_e32 v1, s45
	v_add_co_u32_e32 v20, vcc, s44, v20
	v_addc_co_u32_e32 v21, vcc, v1, v21, vcc
	global_load_dwordx2 v[22:23], v[20:21], off
	s_waitcnt vmcnt(0)
	v_mul_f64 v[22:23], v[2:3], v[22:23]
	global_store_dwordx2 v[20:21], v[22:23], off
.LBB21_152:                             ;   in Loop: Header=BB21_40 Depth=2
	s_or_b64 exec, exec, s[4:5]
	s_waitcnt lgkmcnt(0)
	v_add_u32_e32 v20, v4, v0
	v_cmp_lt_i32_e32 vcc, v20, v5
	s_and_saveexec_b64 s[4:5], vcc
	s_cbranch_execz .LBB21_155
; %bb.153:                              ;   in Loop: Header=BB21_40 Depth=2
	v_ashrrev_i32_e32 v21, 31, v20
	v_lshlrev_b64 v[22:23], 3, v[20:21]
	v_mov_b32_e32 v1, s43
	v_add_co_u32_e32 v4, vcc, s42, v22
	v_addc_co_u32_e32 v1, vcc, v1, v23, vcc
	s_mov_b64 s[8:9], 0
.LBB21_154:                             ;   Parent Loop BB21_7 Depth=1
                                        ;     Parent Loop BB21_40 Depth=2
                                        ; =>    This Inner Loop Header: Depth=3
	v_mov_b32_e32 v8, s84
	v_add_co_u32_e32 v22, vcc, s83, v4
	v_addc_co_u32_e32 v23, vcc, v8, v1, vcc
	global_load_dwordx2 v[28:29], v[22:23], off
	v_mov_b32_e32 v8, s86
	v_add_co_u32_e32 v32, vcc, s85, v4
	v_addc_co_u32_e32 v33, vcc, v8, v1, vcc
	v_mov_b32_e32 v8, s93
	v_add_co_u32_e32 v4, vcc, s95, v4
	v_add_u32_e32 v20, s89, v20
	v_addc_co_u32_e32 v1, vcc, v1, v8, vcc
	v_cmp_ge_i32_e32 vcc, v20, v5
	s_or_b64 s[8:9], vcc, s[8:9]
	s_waitcnt vmcnt(0)
	v_mul_f64 v[28:29], v[2:3], v[28:29]
	global_store_dwordx2 v[22:23], v[28:29], off
	global_load_dwordx2 v[22:23], v[32:33], off
	s_waitcnt vmcnt(0)
	v_mul_f64 v[22:23], v[2:3], v[22:23]
	global_store_dwordx2 v[32:33], v[22:23], off
	s_andn2_b64 exec, exec, s[8:9]
	s_cbranch_execnz .LBB21_154
.LBB21_155:                             ;   in Loop: Header=BB21_40 Depth=2
	s_or_b64 exec, exec, s[4:5]
.LBB21_156:                             ;   in Loop: Header=BB21_40 Depth=2
	s_barrier
.LBB21_157:                             ;   in Loop: Header=BB21_40 Depth=2
	ds_read2_b32 v[2:3], v9 offset0:6 offset1:9
	s_waitcnt lgkmcnt(0)
	v_cmp_gt_i32_e32 vcc, s40, v2
	v_cmp_gt_i32_e64 s[4:5], s11, v3
	s_and_b64 s[4:5], vcc, s[4:5]
	s_andn2_b64 vcc, exec, s[4:5]
	v_readfirstlane_b32 s4, v2
	s_cbranch_vccnz .LBB21_238
; %bb.158:                              ;   in Loop: Header=BB21_40 Depth=2
	v_mov_b32_e32 v65, v25
	v_pk_mov_b32 v[20:21], v[26:27], v[26:27] op_sel:[0,1]
	v_pk_mov_b32 v[22:23], v[30:31], v[30:31] op_sel:[0,1]
	s_and_saveexec_b64 s[8:9], s[0:1]
	s_cbranch_execnz .LBB21_17
	s_branch .LBB21_40
.LBB21_159:                             ;   in Loop: Header=BB21_161 Depth=3
	s_or_b64 exec, exec, s[4:5]
	s_waitcnt lgkmcnt(0)
	s_barrier
	ds_read_b32 v24, v9 offset:16
.LBB21_160:                             ;   in Loop: Header=BB21_161 Depth=3
	ds_read_b64 v[28:29], v9 offset:32
	s_waitcnt lgkmcnt(0)
	v_cmp_ge_i32_e32 vcc, v24, v28
	v_cmp_gt_i32_e64 s[4:5], s11, v29
	s_and_b64 s[4:5], vcc, s[4:5]
	s_andn2_b64 vcc, exec, s[4:5]
	s_cbranch_vccnz .LBB21_141
.LBB21_161:                             ;   Parent Loop BB21_7 Depth=1
                                        ;     Parent Loop BB21_40 Depth=2
                                        ; =>    This Loop Header: Depth=3
                                        ;         Child Loop BB21_169 Depth 4
                                        ;         Child Loop BB21_188 Depth 4
	;; [unrolled: 1-line block ×3, first 2 shown]
                                        ;           Child Loop BB21_235 Depth 5
	s_and_saveexec_b64 s[8:9], s[0:1]
	s_cbranch_execz .LBB21_230
; %bb.162:                              ;   in Loop: Header=BB21_161 Depth=3
	v_cmp_gt_i32_e32 vcc, v24, v28
	s_mov_b64 s[4:5], 0
	s_cbranch_vccnz .LBB21_166
; %bb.163:                              ;   in Loop: Header=BB21_161 Depth=3
	v_ashrrev_i32_e32 v25, 31, v24
	s_mov_b64 s[58:59], -1
	v_pk_mov_b32 v[4:5], v[24:25], v[24:25] op_sel:[0,1]
	v_mov_b32_e32 v2, v24
	s_cbranch_execz .LBB21_167
; %bb.164:                              ;   in Loop: Header=BB21_161 Depth=3
	s_and_b64 vcc, exec, s[58:59]
	s_cbranch_vccz .LBB21_172
.LBB21_165:                             ;   in Loop: Header=BB21_161 Depth=3
	ds_write2_b32 v9, v2, v24 offset0:5 offset1:7
	s_cbranch_execz .LBB21_173
	s_branch .LBB21_174
.LBB21_166:                             ;   in Loop: Header=BB21_161 Depth=3
                                        ; implicit-def: $vgpr4_vgpr5
	s_mov_b64 s[58:59], 0
	v_mov_b32_e32 v2, v24
.LBB21_167:                             ;   in Loop: Header=BB21_161 Depth=3
	v_ashrrev_i32_e32 v25, 31, v24
	v_lshlrev_b64 v[4:5], 3, v[24:25]
	v_mov_b32_e32 v1, s14
	v_add_co_u32_e32 v2, vcc, s57, v4
	v_addc_co_u32_e32 v3, vcc, v1, v5, vcc
	v_mov_b32_e32 v1, s34
	v_add_co_u32_e32 v4, vcc, s13, v4
	v_addc_co_u32_e32 v5, vcc, v1, v5, vcc
	v_mov_b32_e32 v1, v24
	s_branch .LBB21_169
.LBB21_168:                             ;   in Loop: Header=BB21_169 Depth=4
	v_add_u32_e32 v1, -1, v62
	v_add_co_u32_e32 v2, vcc, -8, v2
	v_addc_co_u32_e32 v3, vcc, -1, v3, vcc
	s_mov_b64 s[4:5], 0
	v_cmp_le_i32_e64 s[58:59], v1, v28
	s_andn2_b64 vcc, exec, s[58:59]
	v_pk_mov_b32 v[4:5], v[10:11], v[10:11] op_sel:[0,1]
	s_cbranch_vccz .LBB21_171
.LBB21_169:                             ;   Parent Loop BB21_7 Depth=1
                                        ;     Parent Loop BB21_40 Depth=2
                                        ;       Parent Loop BB21_161 Depth=3
                                        ; =>      This Inner Loop Header: Depth=4
	global_load_dwordx2 v[12:13], v[4:5], off offset:-8
	global_load_dwordx4 v[30:33], v[2:3], off
	v_add_co_u32_e32 v10, vcc, -8, v4
	v_addc_co_u32_e32 v11, vcc, -1, v5, vcc
	v_mov_b32_e32 v62, v1
	s_waitcnt vmcnt(0)
	v_mul_f64 v[4:5], v[12:13], v[12:13]
	v_mul_f64 v[12:13], v[32:33], v[30:31]
	v_mul_f64 v[12:13], v[6:7], |v[12:13]|
	v_cmp_le_f64_e64 s[4:5], |v[4:5]|, v[12:13]
	s_and_b64 vcc, exec, s[4:5]
	s_cbranch_vccz .LBB21_168
; %bb.170:                              ;   in Loop: Header=BB21_161 Depth=3
	s_mov_b64 s[4:5], -1
                                        ; implicit-def: $vgpr1
                                        ; implicit-def: $vgpr2_vgpr3
	v_pk_mov_b32 v[4:5], v[10:11], v[10:11] op_sel:[0,1]
.LBB21_171:                             ;   in Loop: Header=BB21_161 Depth=3
	s_xor_b64 s[58:59], s[4:5], -1
	s_mov_b64 s[4:5], -1
	v_pk_mov_b32 v[12:13], v[24:25], v[24:25] op_sel:[0,1]
	v_mov_b32_e32 v2, v28
	v_pk_mov_b32 v[4:5], v[24:25], v[24:25] op_sel:[0,1]
	s_and_b64 vcc, exec, s[58:59]
	s_cbranch_vccnz .LBB21_165
.LBB21_172:                             ;   in Loop: Header=BB21_161 Depth=3
                                        ; implicit-def: $vgpr2
                                        ; implicit-def: $vgpr4_vgpr5
	s_andn2_b64 vcc, exec, s[4:5]
	s_cbranch_vccnz .LBB21_174
.LBB21_173:                             ;   in Loop: Header=BB21_161 Depth=3
	v_mov_b32_e32 v8, v9
	v_pk_mov_b32 v[4:5], v[12:13], v[12:13] op_sel:[0,1]
	v_mov_b32_e32 v2, v62
	ds_write2_b32 v9, v62, v24 offset0:5 offset1:7
	global_store_dwordx2 v[10:11], v[8:9], off
.LBB21_174:                             ;   in Loop: Header=BB21_161 Depth=3
	v_lshlrev_b64 v[30:31], 3, v[4:5]
	v_mov_b32_e32 v1, s45
	v_add_co_u32_e32 v26, vcc, s44, v30
	v_addc_co_u32_e32 v27, vcc, v1, v31, vcc
	global_load_dwordx2 v[32:33], v[26:27], off
	v_cmp_ne_u32_e32 vcc, v2, v24
	v_add_u32_e32 v1, -1, v24
	s_waitcnt vmcnt(0)
	ds_write_b64 v9, v[32:33]
	s_and_saveexec_b64 s[4:5], vcc
	s_xor_b64 s[58:59], exec, s[4:5]
	s_cbranch_execz .LBB21_227
; %bb.175:                              ;   in Loop: Header=BB21_161 Depth=3
	v_cmp_ne_u32_e32 vcc, v2, v1
	s_and_saveexec_b64 s[4:5], vcc
	s_xor_b64 s[60:61], exec, s[4:5]
	s_cbranch_execz .LBB21_203
; %bb.176:                              ;   in Loop: Header=BB21_161 Depth=3
	v_mov_b32_e32 v1, s12
	v_add_co_u32_e32 v4, vcc, s88, v30
	v_addc_co_u32_e32 v5, vcc, v1, v31, vcc
	global_load_dwordx2 v[34:35], v[26:27], off offset:-8
	global_load_dwordx2 v[30:31], v[4:5], off
	v_ashrrev_i32_e32 v3, 31, v2
	v_lshlrev_b64 v[40:41], 3, v[2:3]
	v_mov_b32_e32 v1, s45
	v_add_co_u32_e32 v36, vcc, s44, v40
	v_addc_co_u32_e32 v37, vcc, v1, v41, vcc
	global_load_dwordx2 v[38:39], v[36:37], off
	v_add_u32_e32 v1, 1, v29
	v_mov_b32_e32 v8, v9
	ds_write_b32 v9, v1 offset:36
	ds_write_b64 v9, v[8:9]
	v_mov_b32_e32 v28, 0
	v_mov_b32_e32 v29, 0x3ff00000
	s_waitcnt vmcnt(2)
	v_add_f64 v[34:35], v[34:35], -v[32:33]
	s_waitcnt vmcnt(1)
	v_add_f64 v[42:43], v[30:31], v[30:31]
	v_div_scale_f64 v[44:45], s[4:5], v[42:43], v[42:43], v[34:35]
	v_rcp_f64_e32 v[46:47], v[44:45]
	v_div_scale_f64 v[48:49], vcc, v[34:35], v[42:43], v[34:35]
	v_cmp_lt_i32_e64 s[4:5], v2, v24
	v_fma_f64 v[50:51], -v[44:45], v[46:47], 1.0
	v_fmac_f64_e32 v[46:47], v[46:47], v[50:51]
	v_fma_f64 v[50:51], -v[44:45], v[46:47], 1.0
	v_fmac_f64_e32 v[46:47], v[46:47], v[50:51]
	v_mul_f64 v[50:51], v[48:49], v[46:47]
	v_fma_f64 v[44:45], -v[44:45], v[50:51], v[48:49]
	v_div_fmas_f64 v[44:45], v[44:45], v[46:47], v[50:51]
	v_div_fixup_f64 v[34:35], v[44:45], v[42:43], v[34:35]
	v_fma_f64 v[42:43], v[34:35], v[34:35], 1.0
	v_cmp_gt_f64_e32 vcc, s[30:31], v[42:43]
	v_cndmask_b32_e64 v3, 0, 1, vcc
	v_lshlrev_b32_e32 v3, 8, v3
	v_ldexp_f64 v[42:43], v[42:43], v3
	v_rsq_f64_e32 v[44:45], v[42:43]
	v_cndmask_b32_e32 v1, 0, v61, vcc
	v_cmp_class_f64_e32 vcc, v[42:43], v60
	v_mul_f64 v[46:47], v[42:43], v[44:45]
	v_mul_f64 v[44:45], v[44:45], 0.5
	v_fma_f64 v[48:49], -v[44:45], v[46:47], 0.5
	v_fmac_f64_e32 v[46:47], v[46:47], v[48:49]
	v_fmac_f64_e32 v[44:45], v[44:45], v[48:49]
	v_fma_f64 v[48:49], -v[46:47], v[46:47], v[42:43]
	v_fmac_f64_e32 v[46:47], v[48:49], v[44:45]
	v_fma_f64 v[48:49], -v[46:47], v[46:47], v[42:43]
	v_fmac_f64_e32 v[46:47], v[48:49], v[44:45]
	v_ldexp_f64 v[44:45], v[46:47], v1
	v_cndmask_b32_e32 v1, v45, v43, vcc
	v_cndmask_b32_e32 v42, v44, v42, vcc
	v_and_b32_e32 v3, 0x7fffffff, v1
	v_or_b32_e32 v1, 0x80000000, v1
	v_cmp_nle_f64_e32 vcc, 0, v[34:35]
	v_cndmask_b32_e32 v43, v3, v1, vcc
	v_add_f64 v[34:35], v[34:35], v[42:43]
	v_div_scale_f64 v[42:43], s[38:39], v[34:35], v[34:35], v[30:31]
	v_rcp_f64_e32 v[44:45], v[42:43]
	v_div_scale_f64 v[48:49], vcc, v[30:31], v[34:35], v[30:31]
	s_waitcnt vmcnt(0)
	v_add_f64 v[46:47], v[38:39], -v[32:33]
	v_fma_f64 v[50:51], -v[42:43], v[44:45], 1.0
	v_fmac_f64_e32 v[44:45], v[44:45], v[50:51]
	v_fma_f64 v[50:51], -v[42:43], v[44:45], 1.0
	v_fmac_f64_e32 v[44:45], v[44:45], v[50:51]
	v_mul_f64 v[50:51], v[48:49], v[44:45]
	v_fma_f64 v[42:43], -v[42:43], v[50:51], v[48:49]
	v_div_fmas_f64 v[42:43], v[42:43], v[44:45], v[50:51]
	v_div_fixup_f64 v[30:31], v[42:43], v[34:35], v[30:31]
	v_add_f64 v[30:31], v[46:47], v[30:31]
	v_pk_mov_b32 v[34:35], 0, 0
	s_and_saveexec_b64 s[62:63], s[4:5]
	s_cbranch_execz .LBB21_202
; %bb.177:                              ;   in Loop: Header=BB21_161 Depth=3
	v_mov_b32_e32 v1, s7
	v_add_co_u32_e32 v32, vcc, s92, v40
	v_addc_co_u32_e32 v33, vcc, v1, v41, vcc
	global_load_dwordx2 v[32:33], v[32:33], off
	v_pk_mov_b32 v[42:43], 0, 0
	s_waitcnt vmcnt(0)
	v_cmp_neq_f64_e32 vcc, 0, v[32:33]
	s_and_saveexec_b64 s[4:5], vcc
	s_cbranch_execz .LBB21_185
; %bb.178:                              ;   in Loop: Header=BB21_161 Depth=3
	v_mov_b32_e32 v42, 0
	v_cmp_neq_f64_e32 vcc, 0, v[30:31]
	v_mov_b32_e32 v43, 0x3ff00000
	v_pk_mov_b32 v[28:29], 0, 0
	s_and_saveexec_b64 s[64:65], vcc
	s_cbranch_execz .LBB21_184
; %bb.179:                              ;   in Loop: Header=BB21_161 Depth=3
	v_cmp_ngt_f64_e64 s[38:39], |v[32:33]|, |v[30:31]|
                                        ; implicit-def: $vgpr42_vgpr43
                                        ; implicit-def: $vgpr28_vgpr29
	s_and_saveexec_b64 s[66:67], s[38:39]
	s_xor_b64 s[66:67], exec, s[66:67]
	s_cbranch_execz .LBB21_181
; %bb.180:                              ;   in Loop: Header=BB21_161 Depth=3
	v_div_scale_f64 v[28:29], s[38:39], v[30:31], v[30:31], -v[32:33]
	v_rcp_f64_e32 v[34:35], v[28:29]
	v_div_scale_f64 v[42:43], vcc, -v[32:33], v[30:31], -v[32:33]
	v_fma_f64 v[44:45], -v[28:29], v[34:35], 1.0
	v_fmac_f64_e32 v[34:35], v[34:35], v[44:45]
	v_fma_f64 v[44:45], -v[28:29], v[34:35], 1.0
	v_fmac_f64_e32 v[34:35], v[34:35], v[44:45]
	v_mul_f64 v[44:45], v[42:43], v[34:35]
	v_fma_f64 v[28:29], -v[28:29], v[44:45], v[42:43]
	v_div_fmas_f64 v[28:29], v[28:29], v[34:35], v[44:45]
	v_div_fixup_f64 v[30:31], v[28:29], v[30:31], -v[32:33]
	v_fma_f64 v[28:29], v[30:31], v[30:31], 1.0
	v_cmp_gt_f64_e32 vcc, s[30:31], v[28:29]
	v_cndmask_b32_e64 v1, 0, 1, vcc
	v_lshlrev_b32_e32 v1, 8, v1
	v_ldexp_f64 v[28:29], v[28:29], v1
	v_rsq_f64_e32 v[34:35], v[28:29]
	v_cndmask_b32_e32 v1, 0, v61, vcc
	v_cmp_class_f64_e32 vcc, v[28:29], v60
	v_mul_f64 v[42:43], v[28:29], v[34:35]
	v_mul_f64 v[34:35], v[34:35], 0.5
	v_fma_f64 v[44:45], -v[34:35], v[42:43], 0.5
	v_fmac_f64_e32 v[42:43], v[42:43], v[44:45]
	v_fmac_f64_e32 v[34:35], v[34:35], v[44:45]
	v_fma_f64 v[44:45], -v[42:43], v[42:43], v[28:29]
	v_fmac_f64_e32 v[42:43], v[44:45], v[34:35]
	v_fma_f64 v[44:45], -v[42:43], v[42:43], v[28:29]
	v_fmac_f64_e32 v[42:43], v[44:45], v[34:35]
	v_ldexp_f64 v[34:35], v[42:43], v1
	v_cndmask_b32_e32 v29, v35, v29, vcc
	v_cndmask_b32_e32 v28, v34, v28, vcc
	v_div_scale_f64 v[34:35], s[38:39], v[28:29], v[28:29], 1.0
	v_rcp_f64_e32 v[42:43], v[34:35]
	v_fma_f64 v[44:45], -v[34:35], v[42:43], 1.0
	v_fmac_f64_e32 v[42:43], v[42:43], v[44:45]
	v_fma_f64 v[44:45], -v[34:35], v[42:43], 1.0
	v_fmac_f64_e32 v[42:43], v[42:43], v[44:45]
	v_div_scale_f64 v[44:45], vcc, 1.0, v[28:29], 1.0
	v_mul_f64 v[46:47], v[44:45], v[42:43]
	v_fma_f64 v[34:35], -v[34:35], v[46:47], v[44:45]
	s_nop 1
	v_div_fmas_f64 v[34:35], v[34:35], v[42:43], v[46:47]
	v_div_fixup_f64 v[28:29], v[34:35], v[28:29], 1.0
	v_mul_f64 v[42:43], v[30:31], v[28:29]
                                        ; implicit-def: $vgpr30_vgpr31
.LBB21_181:                             ;   in Loop: Header=BB21_161 Depth=3
	s_andn2_saveexec_b64 s[66:67], s[66:67]
	s_cbranch_execz .LBB21_183
; %bb.182:                              ;   in Loop: Header=BB21_161 Depth=3
	v_div_scale_f64 v[28:29], s[38:39], v[32:33], v[32:33], -v[30:31]
	v_rcp_f64_e32 v[34:35], v[28:29]
	v_div_scale_f64 v[42:43], vcc, -v[30:31], v[32:33], -v[30:31]
	v_fma_f64 v[44:45], -v[28:29], v[34:35], 1.0
	v_fmac_f64_e32 v[34:35], v[34:35], v[44:45]
	v_fma_f64 v[44:45], -v[28:29], v[34:35], 1.0
	v_fmac_f64_e32 v[34:35], v[34:35], v[44:45]
	v_mul_f64 v[44:45], v[42:43], v[34:35]
	v_fma_f64 v[28:29], -v[28:29], v[44:45], v[42:43]
	v_div_fmas_f64 v[28:29], v[28:29], v[34:35], v[44:45]
	v_div_fixup_f64 v[28:29], v[28:29], v[32:33], -v[30:31]
	v_fma_f64 v[30:31], v[28:29], v[28:29], 1.0
	v_cmp_gt_f64_e32 vcc, s[30:31], v[30:31]
	v_cndmask_b32_e64 v1, 0, 1, vcc
	v_lshlrev_b32_e32 v1, 8, v1
	v_ldexp_f64 v[30:31], v[30:31], v1
	v_rsq_f64_e32 v[34:35], v[30:31]
	v_cndmask_b32_e32 v1, 0, v61, vcc
	v_cmp_class_f64_e32 vcc, v[30:31], v60
	v_mul_f64 v[42:43], v[30:31], v[34:35]
	v_mul_f64 v[34:35], v[34:35], 0.5
	v_fma_f64 v[44:45], -v[34:35], v[42:43], 0.5
	v_fmac_f64_e32 v[42:43], v[42:43], v[44:45]
	v_fmac_f64_e32 v[34:35], v[34:35], v[44:45]
	v_fma_f64 v[44:45], -v[42:43], v[42:43], v[30:31]
	v_fmac_f64_e32 v[42:43], v[44:45], v[34:35]
	v_fma_f64 v[44:45], -v[42:43], v[42:43], v[30:31]
	v_fmac_f64_e32 v[42:43], v[44:45], v[34:35]
	v_ldexp_f64 v[34:35], v[42:43], v1
	v_cndmask_b32_e32 v31, v35, v31, vcc
	v_cndmask_b32_e32 v30, v34, v30, vcc
	v_div_scale_f64 v[34:35], s[38:39], v[30:31], v[30:31], 1.0
	v_rcp_f64_e32 v[42:43], v[34:35]
	v_fma_f64 v[44:45], -v[34:35], v[42:43], 1.0
	v_fmac_f64_e32 v[42:43], v[42:43], v[44:45]
	v_fma_f64 v[44:45], -v[34:35], v[42:43], 1.0
	v_fmac_f64_e32 v[42:43], v[42:43], v[44:45]
	v_div_scale_f64 v[44:45], vcc, 1.0, v[30:31], 1.0
	v_mul_f64 v[46:47], v[44:45], v[42:43]
	v_fma_f64 v[34:35], -v[34:35], v[46:47], v[44:45]
	s_nop 1
	v_div_fmas_f64 v[34:35], v[34:35], v[42:43], v[46:47]
	v_div_fixup_f64 v[42:43], v[34:35], v[30:31], 1.0
	v_mul_f64 v[28:29], v[28:29], v[42:43]
.LBB21_183:                             ;   in Loop: Header=BB21_161 Depth=3
	s_or_b64 exec, exec, s[66:67]
.LBB21_184:                             ;   in Loop: Header=BB21_161 Depth=3
	s_or_b64 exec, exec, s[64:65]
.LBB21_185:                             ;   in Loop: Header=BB21_161 Depth=3
	s_or_b64 exec, exec, s[4:5]
	global_load_dwordx2 v[30:31], v[36:37], off offset:8
	v_mov_b32_e32 v1, s47
	v_add_co_u32_e32 v40, vcc, s46, v40
	v_addc_co_u32_e32 v41, vcc, v1, v41, vcc
	v_add_f64 v[34:35], v[28:29], v[28:29]
	v_mov_b32_e32 v3, s51
	v_add_co_u32_e32 v48, vcc, s50, v40
	v_add_u32_e32 v44, 1, v2
	v_addc_co_u32_e32 v49, vcc, v41, v3, vcc
	v_xor_b32_e32 v47, 0x80000000, v43
	v_mov_b32_e32 v46, v42
	v_cmp_lt_i32_e32 vcc, v44, v24
	s_waitcnt vmcnt(0)
	v_add_f64 v[30:31], v[30:31], -v[38:39]
	v_mul_f64 v[30:31], v[42:43], v[30:31]
	v_fma_f64 v[30:31], v[32:33], v[34:35], -v[30:31]
	v_mul_f64 v[34:35], v[30:31], -v[42:43]
	v_fma_f64 v[38:39], v[30:31], -v[42:43], v[38:39]
	v_fma_f64 v[30:31], v[28:29], v[30:31], -v[32:33]
	ds_write_b64 v9, v[34:35]
	global_store_dwordx2 v[36:37], v[38:39], off
	global_store_dwordx2 v[40:41], v[28:29], off
	global_store_dwordx2 v[48:49], v[46:47], off offset:-8
	s_and_saveexec_b64 s[4:5], vcc
	s_cbranch_execz .LBB21_201
; %bb.186:                              ;   in Loop: Header=BB21_161 Depth=3
	v_ashrrev_i32_e32 v45, 31, v44
	v_readlane_b32 s68, v72, 27
	v_lshlrev_b64 v[32:33], 3, v[44:45]
	s_mov_b32 s15, 1
	s_mov_b64 s[64:65], 0
	s_mov_b64 s[66:67], s[44:45]
	v_readlane_b32 s69, v72, 28
	s_mov_b64 s[70:71], s[54:55]
	s_mov_b64 s[72:73], s[46:47]
	s_branch .LBB21_188
.LBB21_187:                             ;   in Loop: Header=BB21_188 Depth=4
	v_mov_b32_e32 v1, s67
	v_add_co_u32_e32 v48, vcc, s66, v32
	v_addc_co_u32_e32 v49, vcc, v1, v33, vcc
	global_load_dwordx4 v[38:41], v[48:49], off
	s_add_i32 s15, s15, 1
	v_mul_f64 v[28:29], v[28:29], v[36:37]
	v_add_co_u32_e32 v36, vcc, s72, v32
	s_add_u32 s72, s72, 8
	v_mov_b32_e32 v1, s73
	s_addc_u32 s73, s73, 0
	s_add_u32 s70, s70, 8
	v_addc_co_u32_e32 v37, vcc, v1, v33, vcc
	s_addc_u32 s71, s71, 0
	v_add_co_u32_e32 v50, vcc, s68, v32
	s_add_u32 s68, s68, 8
	v_mov_b32_e32 v3, s69
	s_addc_u32 s69, s69, 0
	v_add_f64 v[30:31], v[42:43], v[42:43]
	v_addc_co_u32_e32 v51, vcc, v3, v33, vcc
	v_add_u32_e32 v1, s15, v2
	s_add_u32 s66, s66, 8
	v_cmp_ge_i32_e32 vcc, v1, v24
	s_addc_u32 s67, s67, 0
	v_xor_b32_e32 v47, 0x80000000, v45
	v_mov_b32_e32 v46, v44
	s_or_b64 s[64:65], vcc, s[64:65]
	s_waitcnt vmcnt(0)
	v_add_f64 v[38:39], v[38:39], -v[34:35]
	v_add_f64 v[34:35], v[40:41], -v[38:39]
	v_mul_f64 v[34:35], v[44:45], v[34:35]
	v_fma_f64 v[30:31], v[28:29], v[30:31], -v[34:35]
	v_mul_f64 v[34:35], v[30:31], -v[44:45]
	v_fma_f64 v[38:39], v[30:31], -v[44:45], v[38:39]
	v_fma_f64 v[30:31], v[42:43], v[30:31], -v[28:29]
	v_pk_mov_b32 v[28:29], v[42:43], v[42:43] op_sel:[0,1]
	global_store_dwordx2 v[48:49], v[38:39], off
	global_store_dwordx2 v[36:37], v[42:43], off
	;; [unrolled: 1-line block ×3, first 2 shown]
	s_andn2_b64 exec, exec, s[64:65]
	s_cbranch_execz .LBB21_200
.LBB21_188:                             ;   Parent Loop BB21_7 Depth=1
                                        ;     Parent Loop BB21_40 Depth=2
                                        ;       Parent Loop BB21_161 Depth=3
                                        ; =>      This Inner Loop Header: Depth=4
	v_mov_b32_e32 v1, s71
	v_add_co_u32_e32 v38, vcc, s70, v32
	v_addc_co_u32_e32 v39, vcc, v1, v33, vcc
	global_load_dwordx2 v[36:37], v[38:39], off offset:8
	v_mov_b32_e32 v42, 0
	v_mov_b32_e32 v43, 0x3ff00000
	v_pk_mov_b32 v[44:45], 0, 0
	s_waitcnt vmcnt(0)
	v_mul_f64 v[40:41], v[46:47], v[36:37]
	v_cmp_neq_f64_e32 vcc, 0, v[40:41]
	s_and_saveexec_b64 s[74:75], vcc
	s_cbranch_execz .LBB21_198
; %bb.189:                              ;   in Loop: Header=BB21_188 Depth=4
	v_cmp_neq_f64_e32 vcc, 0, v[30:31]
                                        ; implicit-def: $vgpr44_vgpr45
                                        ; implicit-def: $vgpr42_vgpr43
	s_and_saveexec_b64 s[38:39], vcc
	s_xor_b64 s[76:77], exec, s[38:39]
	s_cbranch_execz .LBB21_195
; %bb.190:                              ;   in Loop: Header=BB21_188 Depth=4
	v_cmp_ngt_f64_e64 s[38:39], |v[40:41]|, |v[30:31]|
                                        ; implicit-def: $vgpr44_vgpr45
                                        ; implicit-def: $vgpr42_vgpr43
	s_and_saveexec_b64 s[78:79], s[38:39]
	s_xor_b64 s[78:79], exec, s[78:79]
	s_cbranch_execz .LBB21_192
; %bb.191:                              ;   in Loop: Header=BB21_188 Depth=4
	v_div_scale_f64 v[42:43], s[38:39], v[30:31], v[30:31], -v[40:41]
	v_rcp_f64_e32 v[44:45], v[42:43]
	v_div_scale_f64 v[46:47], vcc, -v[40:41], v[30:31], -v[40:41]
	v_fma_f64 v[48:49], -v[42:43], v[44:45], 1.0
	v_fmac_f64_e32 v[44:45], v[44:45], v[48:49]
	v_fma_f64 v[48:49], -v[42:43], v[44:45], 1.0
	v_fmac_f64_e32 v[44:45], v[44:45], v[48:49]
	v_mul_f64 v[48:49], v[46:47], v[44:45]
	v_fma_f64 v[42:43], -v[42:43], v[48:49], v[46:47]
	v_div_fmas_f64 v[42:43], v[42:43], v[44:45], v[48:49]
	v_div_fixup_f64 v[44:45], v[42:43], v[30:31], -v[40:41]
	v_fma_f64 v[42:43], v[44:45], v[44:45], 1.0
	v_cmp_gt_f64_e32 vcc, s[30:31], v[42:43]
	v_cndmask_b32_e64 v1, 0, 1, vcc
	v_lshlrev_b32_e32 v1, 8, v1
	v_ldexp_f64 v[42:43], v[42:43], v1
	v_rsq_f64_e32 v[46:47], v[42:43]
	v_cndmask_b32_e32 v1, 0, v61, vcc
	v_cmp_class_f64_e32 vcc, v[42:43], v60
	v_mul_f64 v[48:49], v[42:43], v[46:47]
	v_mul_f64 v[46:47], v[46:47], 0.5
	v_fma_f64 v[50:51], -v[46:47], v[48:49], 0.5
	v_fmac_f64_e32 v[48:49], v[48:49], v[50:51]
	v_fmac_f64_e32 v[46:47], v[46:47], v[50:51]
	v_fma_f64 v[50:51], -v[48:49], v[48:49], v[42:43]
	v_fmac_f64_e32 v[48:49], v[50:51], v[46:47]
	v_fma_f64 v[50:51], -v[48:49], v[48:49], v[42:43]
	v_fmac_f64_e32 v[48:49], v[50:51], v[46:47]
	v_ldexp_f64 v[46:47], v[48:49], v1
	v_cndmask_b32_e32 v43, v47, v43, vcc
	v_cndmask_b32_e32 v42, v46, v42, vcc
	v_div_scale_f64 v[46:47], s[38:39], v[42:43], v[42:43], 1.0
	v_rcp_f64_e32 v[48:49], v[46:47]
	v_fma_f64 v[50:51], -v[46:47], v[48:49], 1.0
	v_fmac_f64_e32 v[48:49], v[48:49], v[50:51]
	v_fma_f64 v[50:51], -v[46:47], v[48:49], 1.0
	v_fmac_f64_e32 v[48:49], v[48:49], v[50:51]
	v_div_scale_f64 v[50:51], vcc, 1.0, v[42:43], 1.0
	v_mul_f64 v[52:53], v[50:51], v[48:49]
	v_fma_f64 v[46:47], -v[46:47], v[52:53], v[50:51]
	s_nop 1
	v_div_fmas_f64 v[46:47], v[46:47], v[48:49], v[52:53]
	v_div_fixup_f64 v[42:43], v[46:47], v[42:43], 1.0
	v_mul_f64 v[44:45], v[44:45], v[42:43]
.LBB21_192:                             ;   in Loop: Header=BB21_188 Depth=4
	s_andn2_saveexec_b64 s[78:79], s[78:79]
	s_cbranch_execz .LBB21_194
; %bb.193:                              ;   in Loop: Header=BB21_188 Depth=4
	v_div_scale_f64 v[42:43], s[38:39], v[40:41], v[40:41], -v[30:31]
	v_rcp_f64_e32 v[44:45], v[42:43]
	v_div_scale_f64 v[46:47], vcc, -v[30:31], v[40:41], -v[30:31]
	v_fma_f64 v[48:49], -v[42:43], v[44:45], 1.0
	v_fmac_f64_e32 v[44:45], v[44:45], v[48:49]
	v_fma_f64 v[48:49], -v[42:43], v[44:45], 1.0
	v_fmac_f64_e32 v[44:45], v[44:45], v[48:49]
	v_mul_f64 v[48:49], v[46:47], v[44:45]
	v_fma_f64 v[42:43], -v[42:43], v[48:49], v[46:47]
	v_div_fmas_f64 v[42:43], v[42:43], v[44:45], v[48:49]
	v_div_fixup_f64 v[42:43], v[42:43], v[40:41], -v[30:31]
	v_fma_f64 v[44:45], v[42:43], v[42:43], 1.0
	v_cmp_gt_f64_e32 vcc, s[30:31], v[44:45]
	v_cndmask_b32_e64 v1, 0, 1, vcc
	v_lshlrev_b32_e32 v1, 8, v1
	v_ldexp_f64 v[44:45], v[44:45], v1
	v_rsq_f64_e32 v[46:47], v[44:45]
	v_cndmask_b32_e32 v1, 0, v61, vcc
	v_cmp_class_f64_e32 vcc, v[44:45], v60
	v_mul_f64 v[48:49], v[44:45], v[46:47]
	v_mul_f64 v[46:47], v[46:47], 0.5
	v_fma_f64 v[50:51], -v[46:47], v[48:49], 0.5
	v_fmac_f64_e32 v[48:49], v[48:49], v[50:51]
	v_fmac_f64_e32 v[46:47], v[46:47], v[50:51]
	v_fma_f64 v[50:51], -v[48:49], v[48:49], v[44:45]
	v_fmac_f64_e32 v[48:49], v[50:51], v[46:47]
	v_fma_f64 v[50:51], -v[48:49], v[48:49], v[44:45]
	v_fmac_f64_e32 v[48:49], v[50:51], v[46:47]
	v_ldexp_f64 v[46:47], v[48:49], v1
	v_cndmask_b32_e32 v45, v47, v45, vcc
	v_cndmask_b32_e32 v44, v46, v44, vcc
	v_div_scale_f64 v[46:47], s[38:39], v[44:45], v[44:45], 1.0
	v_rcp_f64_e32 v[48:49], v[46:47]
	v_fma_f64 v[50:51], -v[46:47], v[48:49], 1.0
	v_fmac_f64_e32 v[48:49], v[48:49], v[50:51]
	v_fma_f64 v[50:51], -v[46:47], v[48:49], 1.0
	v_fmac_f64_e32 v[48:49], v[48:49], v[50:51]
	v_div_scale_f64 v[50:51], vcc, 1.0, v[44:45], 1.0
	v_mul_f64 v[52:53], v[50:51], v[48:49]
	v_fma_f64 v[46:47], -v[46:47], v[52:53], v[50:51]
	s_nop 1
	v_div_fmas_f64 v[46:47], v[46:47], v[48:49], v[52:53]
	v_div_fixup_f64 v[44:45], v[46:47], v[44:45], 1.0
	v_mul_f64 v[42:43], v[42:43], v[44:45]
.LBB21_194:                             ;   in Loop: Header=BB21_188 Depth=4
	s_or_b64 exec, exec, s[78:79]
	v_mul_f64 v[40:41], v[40:41], v[44:45]
	v_fma_f64 v[30:31], v[30:31], v[42:43], -v[40:41]
                                        ; implicit-def: $vgpr40_vgpr41
.LBB21_195:                             ;   in Loop: Header=BB21_188 Depth=4
	s_andn2_saveexec_b64 s[76:77], s[76:77]
; %bb.196:                              ;   in Loop: Header=BB21_188 Depth=4
	v_xor_b32_e32 v41, 0x80000000, v41
	v_mov_b32_e32 v44, 0
	v_mov_b32_e32 v45, 0x3ff00000
	v_pk_mov_b32 v[42:43], 0, 0
	v_pk_mov_b32 v[30:31], v[40:41], v[40:41] op_sel:[0,1]
; %bb.197:                              ;   in Loop: Header=BB21_188 Depth=4
	s_or_b64 exec, exec, s[76:77]
.LBB21_198:                             ;   in Loop: Header=BB21_188 Depth=4
	s_or_b64 exec, exec, s[74:75]
	s_cmp_eq_u32 s15, 0
	s_cbranch_scc1 .LBB21_187
; %bb.199:                              ;   in Loop: Header=BB21_188 Depth=4
	global_store_dwordx2 v[38:39], v[30:31], off
	s_branch .LBB21_187
.LBB21_200:                             ;   in Loop: Header=BB21_161 Depth=3
	s_or_b64 exec, exec, s[64:65]
	ds_write_b64 v9, v[34:35]
.LBB21_201:                             ;   in Loop: Header=BB21_161 Depth=3
	s_or_b64 exec, exec, s[4:5]
	global_load_dwordx2 v[32:33], v[26:27], off
.LBB21_202:                             ;   in Loop: Header=BB21_161 Depth=3
	s_or_b64 exec, exec, s[62:63]
	s_waitcnt vmcnt(0)
	v_add_f64 v[2:3], v[32:33], -v[34:35]
	global_store_dwordx2 v[26:27], v[2:3], off
	global_store_dwordx2 v[4:5], v[30:31], off
                                        ; implicit-def: $vgpr26_vgpr27
                                        ; implicit-def: $vgpr30_vgpr31
                                        ; implicit-def: $vgpr24
                                        ; implicit-def: $vgpr32_vgpr33
                                        ; implicit-def: $vgpr2
.LBB21_203:                             ;   in Loop: Header=BB21_161 Depth=3
	s_andn2_saveexec_b64 s[60:61], s[60:61]
	s_cbranch_execz .LBB21_236
; %bb.204:                              ;   in Loop: Header=BB21_161 Depth=3
	v_ashrrev_i32_e32 v3, 31, v2
	v_lshlrev_b64 v[28:29], 3, v[2:3]
	v_mov_b32_e32 v1, s45
	v_add_co_u32_e32 v2, vcc, s44, v28
	v_addc_co_u32_e32 v3, vcc, v1, v29, vcc
	v_mov_b32_e32 v1, s7
	v_add_co_u32_e32 v4, vcc, s92, v28
	v_addc_co_u32_e32 v5, vcc, v1, v29, vcc
	global_load_dwordx2 v[2:3], v[2:3], off
	s_nop 0
	global_load_dwordx2 v[38:39], v[4:5], off
                                        ; implicit-def: $vgpr40_vgpr41
	s_waitcnt vmcnt(1)
	v_add_f64 v[36:37], v[2:3], -v[32:33]
	s_waitcnt vmcnt(0)
	v_add_f64 v[34:35], v[38:39], v[38:39]
	v_cmp_ngt_f64_e64 s[4:5], |v[36:37]|, |v[34:35]|
	s_and_saveexec_b64 s[38:39], s[4:5]
	s_xor_b64 s[4:5], exec, s[38:39]
	s_cbranch_execz .LBB21_210
; %bb.205:                              ;   in Loop: Header=BB21_161 Depth=3
	v_cmp_nlt_f64_e64 s[38:39], |v[36:37]|, |v[34:35]|
                                        ; implicit-def: $vgpr40_vgpr41
	s_and_saveexec_b64 s[62:63], s[38:39]
	s_xor_b64 s[62:63], exec, s[62:63]
; %bb.206:                              ;   in Loop: Header=BB21_161 Depth=3
	s_mov_b32 s38, 0x667f3bcd
	s_mov_b32 s39, 0x3ff6a09e
	v_mul_f64 v[40:41], |v[34:35]|, s[38:39]
; %bb.207:                              ;   in Loop: Header=BB21_161 Depth=3
	s_andn2_saveexec_b64 s[62:63], s[62:63]
	s_cbranch_execz .LBB21_209
; %bb.208:                              ;   in Loop: Header=BB21_161 Depth=3
	v_and_b32_e32 v5, 0x7fffffff, v37
	v_mov_b32_e32 v4, v36
	v_and_b32_e32 v41, 0x7fffffff, v35
	v_mov_b32_e32 v40, v34
	v_div_scale_f64 v[42:43], s[38:39], v[40:41], v[40:41], v[4:5]
	v_rcp_f64_e32 v[44:45], v[42:43]
	v_div_scale_f64 v[4:5], vcc, v[4:5], v[40:41], v[4:5]
	v_fma_f64 v[46:47], -v[42:43], v[44:45], 1.0
	v_fmac_f64_e32 v[44:45], v[44:45], v[46:47]
	v_fma_f64 v[46:47], -v[42:43], v[44:45], 1.0
	v_fmac_f64_e32 v[44:45], v[44:45], v[46:47]
	v_mul_f64 v[40:41], v[4:5], v[44:45]
	v_fma_f64 v[4:5], -v[42:43], v[40:41], v[4:5]
	v_div_fmas_f64 v[4:5], v[4:5], v[44:45], v[40:41]
	v_div_fixup_f64 v[4:5], v[4:5], |v[34:35]|, |v[36:37]|
	v_fma_f64 v[4:5], v[4:5], v[4:5], 1.0
	v_cmp_gt_f64_e32 vcc, s[30:31], v[4:5]
	v_cndmask_b32_e64 v1, 0, 1, vcc
	v_lshlrev_b32_e32 v1, 8, v1
	v_ldexp_f64 v[4:5], v[4:5], v1
	v_rsq_f64_e32 v[40:41], v[4:5]
	v_cndmask_b32_e32 v1, 0, v61, vcc
	v_cmp_class_f64_e32 vcc, v[4:5], v60
	v_mul_f64 v[42:43], v[4:5], v[40:41]
	v_mul_f64 v[40:41], v[40:41], 0.5
	v_fma_f64 v[44:45], -v[40:41], v[42:43], 0.5
	v_fmac_f64_e32 v[42:43], v[42:43], v[44:45]
	v_fma_f64 v[46:47], -v[42:43], v[42:43], v[4:5]
	v_fmac_f64_e32 v[40:41], v[40:41], v[44:45]
	v_fmac_f64_e32 v[42:43], v[46:47], v[40:41]
	v_fma_f64 v[44:45], -v[42:43], v[42:43], v[4:5]
	v_fmac_f64_e32 v[42:43], v[44:45], v[40:41]
	v_ldexp_f64 v[40:41], v[42:43], v1
	v_cndmask_b32_e32 v5, v41, v5, vcc
	v_cndmask_b32_e32 v4, v40, v4, vcc
	v_mul_f64 v[40:41], |v[34:35]|, v[4:5]
.LBB21_209:                             ;   in Loop: Header=BB21_161 Depth=3
	s_or_b64 exec, exec, s[62:63]
.LBB21_210:                             ;   in Loop: Header=BB21_161 Depth=3
	s_andn2_saveexec_b64 s[4:5], s[4:5]
	s_cbranch_execz .LBB21_212
; %bb.211:                              ;   in Loop: Header=BB21_161 Depth=3
	v_and_b32_e32 v5, 0x7fffffff, v35
	v_mov_b32_e32 v4, v34
	v_and_b32_e32 v41, 0x7fffffff, v37
	v_mov_b32_e32 v40, v36
	v_div_scale_f64 v[42:43], s[38:39], v[40:41], v[40:41], v[4:5]
	v_rcp_f64_e32 v[44:45], v[42:43]
	v_div_scale_f64 v[4:5], vcc, v[4:5], v[40:41], v[4:5]
	v_fma_f64 v[46:47], -v[42:43], v[44:45], 1.0
	v_fmac_f64_e32 v[44:45], v[44:45], v[46:47]
	v_fma_f64 v[46:47], -v[42:43], v[44:45], 1.0
	v_fmac_f64_e32 v[44:45], v[44:45], v[46:47]
	v_mul_f64 v[40:41], v[4:5], v[44:45]
	v_fma_f64 v[4:5], -v[42:43], v[40:41], v[4:5]
	v_div_fmas_f64 v[4:5], v[4:5], v[44:45], v[40:41]
	v_div_fixup_f64 v[4:5], v[4:5], |v[36:37]|, |v[34:35]|
	v_fma_f64 v[4:5], v[4:5], v[4:5], 1.0
	v_cmp_gt_f64_e32 vcc, s[30:31], v[4:5]
	v_cndmask_b32_e64 v1, 0, 1, vcc
	v_lshlrev_b32_e32 v1, 8, v1
	v_ldexp_f64 v[4:5], v[4:5], v1
	v_rsq_f64_e32 v[40:41], v[4:5]
	v_cndmask_b32_e32 v1, 0, v61, vcc
	v_cmp_class_f64_e32 vcc, v[4:5], v60
	v_mul_f64 v[42:43], v[4:5], v[40:41]
	v_mul_f64 v[40:41], v[40:41], 0.5
	v_fma_f64 v[44:45], -v[40:41], v[42:43], 0.5
	v_fmac_f64_e32 v[42:43], v[42:43], v[44:45]
	v_fma_f64 v[46:47], -v[42:43], v[42:43], v[4:5]
	v_fmac_f64_e32 v[40:41], v[40:41], v[44:45]
	v_fmac_f64_e32 v[42:43], v[46:47], v[40:41]
	v_fma_f64 v[44:45], -v[42:43], v[42:43], v[4:5]
	v_fmac_f64_e32 v[42:43], v[44:45], v[40:41]
	v_ldexp_f64 v[40:41], v[42:43], v1
	v_cndmask_b32_e32 v5, v41, v5, vcc
	v_cndmask_b32_e32 v4, v40, v4, vcc
	v_mul_f64 v[40:41], |v[36:37]|, v[4:5]
.LBB21_212:                             ;   in Loop: Header=BB21_161 Depth=3
	s_or_b64 exec, exec, s[4:5]
	v_add_f64 v[44:45], v[32:33], v[2:3]
	v_cmp_gt_f64_e64 vcc, |v[2:3]|, |v[32:33]|
	v_cndmask_b32_e32 v43, v3, v33, vcc
	v_cndmask_b32_e32 v42, v2, v32, vcc
	;; [unrolled: 1-line block ×4, first 2 shown]
	v_cmp_ngt_f64_e32 vcc, 0, v[44:45]
                                        ; implicit-def: $vgpr1
                                        ; implicit-def: $vgpr4_vgpr5
	s_and_saveexec_b64 s[4:5], vcc
	s_xor_b64 s[4:5], exec, s[4:5]
	s_cbranch_execz .LBB21_218
; %bb.213:                              ;   in Loop: Header=BB21_161 Depth=3
	v_cmp_nlt_f64_e32 vcc, 0, v[44:45]
                                        ; implicit-def: $sgpr15
                                        ; implicit-def: $vgpr4_vgpr5
	s_and_saveexec_b64 s[38:39], vcc
	s_xor_b64 s[62:63], exec, s[38:39]
; %bb.214:                              ;   in Loop: Header=BB21_161 Depth=3
	v_mul_f64 v[2:3], v[40:41], 0.5
	v_mul_f64 v[4:5], v[40:41], -0.5
	s_mov_b32 s15, 1
                                        ; implicit-def: $vgpr44_vgpr45
                                        ; implicit-def: $vgpr32_vgpr33
                                        ; implicit-def: $vgpr38_vgpr39
                                        ; implicit-def: $vgpr42_vgpr43
; %bb.215:                              ;   in Loop: Header=BB21_161 Depth=3
	s_or_saveexec_b64 s[62:63], s[62:63]
	v_mov_b32_e32 v1, s15
	s_xor_b64 exec, exec, s[62:63]
	s_cbranch_execz .LBB21_217
; %bb.216:                              ;   in Loop: Header=BB21_161 Depth=3
	v_add_f64 v[2:3], v[44:45], v[40:41]
	v_mul_f64 v[2:3], v[2:3], 0.5
	v_div_scale_f64 v[4:5], s[38:39], v[2:3], v[2:3], v[32:33]
	v_rcp_f64_e32 v[44:45], v[4:5]
	v_div_scale_f64 v[46:47], vcc, v[32:33], v[2:3], v[32:33]
	v_mov_b32_e32 v1, 1
	v_fma_f64 v[48:49], -v[4:5], v[44:45], 1.0
	v_fmac_f64_e32 v[44:45], v[44:45], v[48:49]
	v_fma_f64 v[48:49], -v[4:5], v[44:45], 1.0
	v_fmac_f64_e32 v[44:45], v[44:45], v[48:49]
	v_mul_f64 v[48:49], v[46:47], v[44:45]
	v_fma_f64 v[4:5], -v[4:5], v[48:49], v[46:47]
	v_div_scale_f64 v[46:47], s[38:39], v[2:3], v[2:3], v[38:39]
	v_rcp_f64_e32 v[50:51], v[46:47]
	v_div_fmas_f64 v[4:5], v[4:5], v[44:45], v[48:49]
	v_div_fixup_f64 v[4:5], v[4:5], v[2:3], v[32:33]
	v_fma_f64 v[32:33], -v[46:47], v[50:51], 1.0
	v_fmac_f64_e32 v[50:51], v[50:51], v[32:33]
	v_fma_f64 v[32:33], -v[46:47], v[50:51], 1.0
	v_fmac_f64_e32 v[50:51], v[50:51], v[32:33]
	v_div_scale_f64 v[32:33], vcc, v[38:39], v[2:3], v[38:39]
	v_mul_f64 v[44:45], v[32:33], v[50:51]
	v_fma_f64 v[32:33], -v[46:47], v[44:45], v[32:33]
	s_nop 1
	v_div_fmas_f64 v[32:33], v[32:33], v[50:51], v[44:45]
	v_div_fixup_f64 v[32:33], v[32:33], v[2:3], v[38:39]
	v_mul_f64 v[32:33], v[38:39], v[32:33]
	v_fma_f64 v[4:5], v[42:43], v[4:5], -v[32:33]
.LBB21_217:                             ;   in Loop: Header=BB21_161 Depth=3
	s_or_b64 exec, exec, s[62:63]
                                        ; implicit-def: $vgpr44_vgpr45
                                        ; implicit-def: $vgpr32_vgpr33
                                        ; implicit-def: $vgpr38_vgpr39
                                        ; implicit-def: $vgpr42_vgpr43
.LBB21_218:                             ;   in Loop: Header=BB21_161 Depth=3
	s_andn2_saveexec_b64 s[4:5], s[4:5]
	s_cbranch_execz .LBB21_220
; %bb.219:                              ;   in Loop: Header=BB21_161 Depth=3
	v_add_f64 v[2:3], v[44:45], -v[40:41]
	v_mul_f64 v[2:3], v[2:3], 0.5
	v_div_scale_f64 v[4:5], s[38:39], v[2:3], v[2:3], v[32:33]
	v_rcp_f64_e32 v[44:45], v[4:5]
	v_div_scale_f64 v[46:47], vcc, v[32:33], v[2:3], v[32:33]
	v_mov_b32_e32 v1, -1
	v_fma_f64 v[48:49], -v[4:5], v[44:45], 1.0
	v_fmac_f64_e32 v[44:45], v[44:45], v[48:49]
	v_fma_f64 v[48:49], -v[4:5], v[44:45], 1.0
	v_fmac_f64_e32 v[44:45], v[44:45], v[48:49]
	v_mul_f64 v[48:49], v[46:47], v[44:45]
	v_fma_f64 v[4:5], -v[4:5], v[48:49], v[46:47]
	v_div_scale_f64 v[46:47], s[38:39], v[2:3], v[2:3], v[38:39]
	v_rcp_f64_e32 v[50:51], v[46:47]
	v_div_fmas_f64 v[4:5], v[4:5], v[44:45], v[48:49]
	v_div_fixup_f64 v[4:5], v[4:5], v[2:3], v[32:33]
	v_fma_f64 v[32:33], -v[46:47], v[50:51], 1.0
	v_fmac_f64_e32 v[50:51], v[50:51], v[32:33]
	v_fma_f64 v[32:33], -v[46:47], v[50:51], 1.0
	v_fmac_f64_e32 v[50:51], v[50:51], v[32:33]
	v_div_scale_f64 v[32:33], vcc, v[38:39], v[2:3], v[38:39]
	v_mul_f64 v[44:45], v[32:33], v[50:51]
	v_fma_f64 v[32:33], -v[46:47], v[44:45], v[32:33]
	s_nop 1
	v_div_fmas_f64 v[32:33], v[32:33], v[50:51], v[44:45]
	v_div_fixup_f64 v[32:33], v[32:33], v[2:3], v[38:39]
	v_mul_f64 v[32:33], v[38:39], v[32:33]
	v_fma_f64 v[4:5], v[42:43], v[4:5], -v[32:33]
.LBB21_220:                             ;   in Loop: Header=BB21_161 Depth=3
	s_or_b64 exec, exec, s[4:5]
	v_xor_b32_e32 v8, 0x80000000, v41
	v_cmp_nle_f64_e64 s[4:5], 0, v[36:37]
	v_cndmask_b32_e64 v33, v41, v8, s[4:5]
	v_cndmask_b32_e64 v32, v40, v40, s[4:5]
	v_add_f64 v[32:33], v[36:37], v[32:33]
	v_cmp_ngt_f64_e64 s[38:39], |v[32:33]|, |v[34:35]|
                                        ; implicit-def: $vgpr36_vgpr37
                                        ; implicit-def: $vgpr38_vgpr39
	s_and_saveexec_b64 s[62:63], s[38:39]
	s_xor_b64 s[62:63], exec, s[62:63]
	s_cbranch_execz .LBB21_224
; %bb.221:                              ;   in Loop: Header=BB21_161 Depth=3
	v_mov_b32_e32 v38, 0
	v_cmp_neq_f64_e32 vcc, 0, v[34:35]
	v_pk_mov_b32 v[36:37], 0, 0
	v_mov_b32_e32 v39, 0x3ff00000
	s_and_saveexec_b64 s[64:65], vcc
	s_cbranch_execz .LBB21_223
; %bb.222:                              ;   in Loop: Header=BB21_161 Depth=3
	v_div_scale_f64 v[36:37], s[38:39], v[34:35], v[34:35], -v[32:33]
	v_rcp_f64_e32 v[38:39], v[36:37]
	v_div_scale_f64 v[40:41], vcc, -v[32:33], v[34:35], -v[32:33]
	v_fma_f64 v[42:43], -v[36:37], v[38:39], 1.0
	v_fmac_f64_e32 v[38:39], v[38:39], v[42:43]
	v_fma_f64 v[42:43], -v[36:37], v[38:39], 1.0
	v_fmac_f64_e32 v[38:39], v[38:39], v[42:43]
	v_mul_f64 v[42:43], v[40:41], v[38:39]
	v_fma_f64 v[36:37], -v[36:37], v[42:43], v[40:41]
	v_div_fmas_f64 v[36:37], v[36:37], v[38:39], v[42:43]
	v_div_fixup_f64 v[32:33], v[36:37], v[34:35], -v[32:33]
	v_fma_f64 v[34:35], v[32:33], v[32:33], 1.0
	v_cmp_gt_f64_e32 vcc, s[30:31], v[34:35]
	v_cndmask_b32_e64 v8, 0, 1, vcc
	v_lshlrev_b32_e32 v8, 8, v8
	v_ldexp_f64 v[34:35], v[34:35], v8
	v_rsq_f64_e32 v[36:37], v[34:35]
	v_cndmask_b32_e32 v8, 0, v61, vcc
	v_cmp_class_f64_e32 vcc, v[34:35], v60
	v_mul_f64 v[38:39], v[34:35], v[36:37]
	v_mul_f64 v[36:37], v[36:37], 0.5
	v_fma_f64 v[40:41], -v[36:37], v[38:39], 0.5
	v_fmac_f64_e32 v[38:39], v[38:39], v[40:41]
	v_fmac_f64_e32 v[36:37], v[36:37], v[40:41]
	v_fma_f64 v[40:41], -v[38:39], v[38:39], v[34:35]
	v_fmac_f64_e32 v[38:39], v[40:41], v[36:37]
	v_fma_f64 v[40:41], -v[38:39], v[38:39], v[34:35]
	v_fmac_f64_e32 v[38:39], v[40:41], v[36:37]
	v_ldexp_f64 v[36:37], v[38:39], v8
	v_cndmask_b32_e32 v35, v37, v35, vcc
	v_cndmask_b32_e32 v34, v36, v34, vcc
	v_div_scale_f64 v[36:37], s[38:39], v[34:35], v[34:35], 1.0
	v_rcp_f64_e32 v[38:39], v[36:37]
	v_fma_f64 v[40:41], -v[36:37], v[38:39], 1.0
	v_fmac_f64_e32 v[38:39], v[38:39], v[40:41]
	v_fma_f64 v[40:41], -v[36:37], v[38:39], 1.0
	v_fmac_f64_e32 v[38:39], v[38:39], v[40:41]
	v_div_scale_f64 v[40:41], vcc, 1.0, v[34:35], 1.0
	v_mul_f64 v[42:43], v[40:41], v[38:39]
	v_fma_f64 v[36:37], -v[36:37], v[42:43], v[40:41]
	s_nop 1
	v_div_fmas_f64 v[36:37], v[36:37], v[38:39], v[42:43]
	v_div_fixup_f64 v[38:39], v[36:37], v[34:35], 1.0
	v_mul_f64 v[36:37], v[32:33], v[38:39]
.LBB21_223:                             ;   in Loop: Header=BB21_161 Depth=3
	s_or_b64 exec, exec, s[64:65]
                                        ; implicit-def: $vgpr32_vgpr33
                                        ; implicit-def: $vgpr34_vgpr35
.LBB21_224:                             ;   in Loop: Header=BB21_161 Depth=3
	s_andn2_saveexec_b64 s[62:63], s[62:63]
	s_cbranch_execz .LBB21_226
; %bb.225:                              ;   in Loop: Header=BB21_161 Depth=3
	v_div_scale_f64 v[36:37], s[38:39], v[32:33], v[32:33], -v[34:35]
	v_rcp_f64_e32 v[38:39], v[36:37]
	v_div_scale_f64 v[40:41], vcc, -v[34:35], v[32:33], -v[34:35]
	v_fma_f64 v[42:43], -v[36:37], v[38:39], 1.0
	v_fmac_f64_e32 v[38:39], v[38:39], v[42:43]
	v_fma_f64 v[42:43], -v[36:37], v[38:39], 1.0
	v_fmac_f64_e32 v[38:39], v[38:39], v[42:43]
	v_mul_f64 v[42:43], v[40:41], v[38:39]
	v_fma_f64 v[36:37], -v[36:37], v[42:43], v[40:41]
	v_div_fmas_f64 v[36:37], v[36:37], v[38:39], v[42:43]
	v_div_fixup_f64 v[32:33], v[36:37], v[32:33], -v[34:35]
	v_fma_f64 v[34:35], v[32:33], v[32:33], 1.0
	v_cmp_gt_f64_e32 vcc, s[30:31], v[34:35]
	v_cndmask_b32_e64 v8, 0, 1, vcc
	v_lshlrev_b32_e32 v8, 8, v8
	v_ldexp_f64 v[34:35], v[34:35], v8
	v_rsq_f64_e32 v[36:37], v[34:35]
	v_cndmask_b32_e32 v8, 0, v61, vcc
	v_cmp_class_f64_e32 vcc, v[34:35], v60
	v_mul_f64 v[38:39], v[34:35], v[36:37]
	v_mul_f64 v[36:37], v[36:37], 0.5
	v_fma_f64 v[40:41], -v[36:37], v[38:39], 0.5
	v_fmac_f64_e32 v[38:39], v[38:39], v[40:41]
	v_fmac_f64_e32 v[36:37], v[36:37], v[40:41]
	v_fma_f64 v[40:41], -v[38:39], v[38:39], v[34:35]
	v_fmac_f64_e32 v[38:39], v[40:41], v[36:37]
	v_fma_f64 v[40:41], -v[38:39], v[38:39], v[34:35]
	v_fmac_f64_e32 v[38:39], v[40:41], v[36:37]
	v_ldexp_f64 v[36:37], v[38:39], v8
	v_cndmask_b32_e32 v35, v37, v35, vcc
	v_cndmask_b32_e32 v34, v36, v34, vcc
	v_div_scale_f64 v[36:37], s[38:39], v[34:35], v[34:35], 1.0
	v_rcp_f64_e32 v[38:39], v[36:37]
	v_fma_f64 v[40:41], -v[36:37], v[38:39], 1.0
	v_fmac_f64_e32 v[38:39], v[38:39], v[40:41]
	v_fma_f64 v[40:41], -v[36:37], v[38:39], 1.0
	v_fmac_f64_e32 v[38:39], v[38:39], v[40:41]
	v_div_scale_f64 v[40:41], vcc, 1.0, v[34:35], 1.0
	v_mul_f64 v[42:43], v[40:41], v[38:39]
	v_fma_f64 v[36:37], -v[36:37], v[42:43], v[40:41]
	s_nop 1
	v_div_fmas_f64 v[36:37], v[36:37], v[38:39], v[42:43]
	v_div_fixup_f64 v[36:37], v[36:37], v[34:35], 1.0
	v_mul_f64 v[38:39], v[32:33], v[36:37]
.LBB21_226:                             ;   in Loop: Header=BB21_161 Depth=3
	s_or_b64 exec, exec, s[62:63]
	v_cndmask_b32_e64 v8, 1, -1, s[4:5]
	v_xor_b32_e32 v25, 0x80000000, v37
	v_cmp_eq_u32_e32 vcc, v1, v8
	v_cndmask_b32_e32 v33, v39, v25, vcc
	v_cndmask_b32_e32 v32, v38, v36, vcc
	;; [unrolled: 1-line block ×4, first 2 shown]
	v_mov_b32_e32 v1, s47
	v_add_co_u32_e32 v28, vcc, s46, v28
	v_addc_co_u32_e32 v29, vcc, v1, v29, vcc
	global_store_dwordx2 v[28:29], v[32:33], off
	v_mov_b32_e32 v1, s51
	v_add_co_u32_e32 v28, vcc, s50, v28
	v_addc_co_u32_e32 v29, vcc, v29, v1, vcc
	global_store_dwordx2 v[28:29], v[34:35], off offset:-8
	global_store_dwordx4 v[26:27], v[2:5], off offset:-8
	v_mov_b32_e32 v1, s12
	v_add_co_u32_e32 v2, vcc, s88, v30
	v_addc_co_u32_e32 v3, vcc, v1, v31, vcc
	v_mov_b32_e32 v8, v9
	v_add_u32_e32 v1, -2, v24
	global_store_dwordx2 v[2:3], v[8:9], off
	ds_write_b32 v9, v1 offset:16
	s_or_b64 exec, exec, s[60:61]
                                        ; implicit-def: $vgpr1
.LBB21_227:                             ;   in Loop: Header=BB21_161 Depth=3
	s_andn2_saveexec_b64 s[4:5], s[58:59]
	s_cbranch_execz .LBB21_229
.LBB21_228:                             ;   in Loop: Header=BB21_161 Depth=3
	ds_write_b32 v9, v1 offset:16
.LBB21_229:                             ;   in Loop: Header=BB21_161 Depth=3
	s_or_b64 exec, exec, s[4:5]
.LBB21_230:                             ;   in Loop: Header=BB21_161 Depth=3
	s_or_b64 exec, exec, s[8:9]
	s_waitcnt lgkmcnt(0)
	s_barrier
	ds_read_b64 v[2:3], v9 offset:16
	s_waitcnt lgkmcnt(0)
	v_readfirstlane_b32 s8, v3
	v_cmp_eq_u32_e32 vcc, s8, v2
	v_mov_b32_e32 v24, s8
	s_cbranch_vccnz .LBB21_160
; %bb.231:                              ;   in Loop: Header=BB21_161 Depth=3
	s_and_saveexec_b64 s[4:5], s[2:3]
	s_cbranch_execz .LBB21_159
; %bb.232:                              ;   in Loop: Header=BB21_161 Depth=3
	ds_read_b32 v1, v9 offset:28
	s_ashr_i32 s9, s8, 31
	s_lshl_b64 s[58:59], s[8:9], 3
	s_mul_i32 s38, s8, s23
	v_mov_b32_e32 v8, v0
	s_waitcnt lgkmcnt(0)
	v_readfirstlane_b32 s9, v1
	s_sub_i32 s15, s9, s8
	s_add_u32 s8, s46, s58
	s_addc_u32 s9, s47, s59
	s_ashr_i32 s39, s38, 31
	s_lshl_b64 s[38:39], s[38:39], 3
	s_add_u32 s16, s90, s38
	s_addc_u32 s37, s87, s39
	s_cmp_gt_i32 s15, 0
	s_mul_hi_i32 s61, s15, s18
	s_mul_i32 s60, s15, s18
	s_cselect_b64 s[58:59], -1, 0
	s_lshl_b64 s[60:61], s[60:61], 3
	s_add_u32 s64, s16, s60
	v_mov_b32_e32 v1, s39
	v_add_co_u32_e32 v2, vcc, s38, v63
	s_addc_u32 s65, s37, s61
	v_addc_co_u32_e32 v3, vcc, v64, v1, vcc
	s_mov_b64 s[60:61], 0
	s_branch .LBB21_234
.LBB21_233:                             ;   in Loop: Header=BB21_234 Depth=4
	v_mov_b32_e32 v1, s65
	v_add_co_u32_e32 v4, vcc, s64, v4
	v_addc_co_u32_e32 v5, vcc, v1, v5, vcc
	v_add_u32_e32 v8, s89, v8
	v_cmp_le_i32_e32 vcc, s40, v8
	v_mov_b32_e32 v1, s93
	s_or_b64 s[60:61], vcc, s[60:61]
	v_add_co_u32_e32 v2, vcc, s95, v2
	v_addc_co_u32_e32 v3, vcc, v3, v1, vcc
	s_waitcnt vmcnt(0) lgkmcnt(0)
	flat_store_dwordx2 v[4:5], v[24:25]
	s_andn2_b64 exec, exec, s[60:61]
	s_cbranch_execz .LBB21_159
.LBB21_234:                             ;   Parent Loop BB21_7 Depth=1
                                        ;     Parent Loop BB21_40 Depth=2
                                        ;       Parent Loop BB21_161 Depth=3
                                        ; =>      This Loop Header: Depth=4
                                        ;           Child Loop BB21_235 Depth 5
	v_lshlrev_b64 v[4:5], 3, v[8:9]
	v_mov_b32_e32 v1, s37
	v_add_co_u32_e32 v24, vcc, s16, v4
	v_addc_co_u32_e32 v25, vcc, v1, v5, vcc
	flat_load_dwordx2 v[24:25], v[24:25]
	s_andn2_b64 vcc, exec, s[58:59]
	s_mov_b64 s[62:63], s[8:9]
	v_pk_mov_b32 v[26:27], v[2:3], v[2:3] op_sel:[0,1]
	s_mov_b32 s66, s15
	s_cbranch_vccnz .LBB21_233
.LBB21_235:                             ;   Parent Loop BB21_7 Depth=1
                                        ;     Parent Loop BB21_40 Depth=2
                                        ;       Parent Loop BB21_161 Depth=3
                                        ;         Parent Loop BB21_234 Depth=4
                                        ; =>        This Inner Loop Header: Depth=5
	v_mov_b32_e32 v1, s21
	v_add_co_u32_e32 v28, vcc, s20, v26
	s_add_u32 s38, s62, s41
	v_addc_co_u32_e32 v29, vcc, v27, v1, vcc
	s_addc_u32 s39, s63, s52
	flat_load_dwordx2 v[30:31], v[28:29]
	global_load_dwordx2 v[32:33], v9, s[38:39]
	global_load_dwordx2 v[34:35], v9, s[62:63]
	s_add_i32 s66, s66, -1
	s_add_u32 s62, s62, 8
	s_addc_u32 s63, s63, 0
	s_cmp_eq_u32 s66, 0
	s_waitcnt vmcnt(0) lgkmcnt(0)
	v_mul_f64 v[36:37], v[32:33], v[30:31]
	v_mul_f64 v[32:33], v[24:25], v[32:33]
	v_fmac_f64_e32 v[36:37], v[24:25], v[34:35]
	v_fma_f64 v[24:25], v[34:35], v[30:31], -v[32:33]
	flat_store_dwordx2 v[26:27], v[36:37]
	v_pk_mov_b32 v[26:27], v[28:29], v[28:29] op_sel:[0,1]
	s_cbranch_scc0 .LBB21_235
	s_branch .LBB21_233
.LBB21_236:                             ;   in Loop: Header=BB21_161 Depth=3
	s_or_b64 exec, exec, s[60:61]
                                        ; implicit-def: $vgpr1
	s_andn2_saveexec_b64 s[4:5], s[58:59]
	s_cbranch_execnz .LBB21_228
	s_branch .LBB21_229
.LBB21_237:                             ;   in Loop: Header=BB21_7 Depth=1
	v_pk_mov_b32 v[30:31], v[22:23], v[22:23] op_sel:[0,1]
	v_pk_mov_b32 v[26:27], v[20:21], v[20:21] op_sel:[0,1]
	v_mov_b32_e32 v25, v65
	v_cmp_gt_i32_e32 vcc, s36, v0
	s_and_saveexec_b64 s[2:3], vcc
	s_cbranch_execz .LBB21_5
	s_branch .LBB21_239
.LBB21_238:                             ;   in Loop: Header=BB21_7 Depth=1
	v_readlane_b32 s8, v72, 23
	v_readlane_b32 s22, v72, 22
	;; [unrolled: 1-line block ×3, first 2 shown]
	v_cmp_gt_i32_e32 vcc, s36, v0
	s_and_saveexec_b64 s[2:3], vcc
	s_cbranch_execz .LBB21_5
.LBB21_239:                             ;   in Loop: Header=BB21_7 Depth=1
	s_lshl_b64 s[4:5], s[8:9], 3
	v_mov_b32_e32 v1, s5
	v_add_co_u32_e32 v2, vcc, s4, v58
	v_addc_co_u32_e32 v3, vcc, v59, v1, vcc
	s_mov_b64 s[4:5], 0
	v_mov_b32_e32 v1, v0
	s_branch .LBB21_241
.LBB21_240:                             ;   in Loop: Header=BB21_241 Depth=2
	s_or_b64 exec, exec, s[8:9]
	v_add_u32_e32 v1, s89, v1
	v_cmp_le_i32_e32 vcc, s36, v1
	v_mov_b32_e32 v4, s93
	s_or_b64 s[4:5], vcc, s[4:5]
	v_add_co_u32_e32 v2, vcc, s95, v2
	v_addc_co_u32_e32 v3, vcc, v3, v4, vcc
	s_andn2_b64 exec, exec, s[4:5]
	s_cbranch_execz .LBB21_5
.LBB21_241:                             ;   Parent Loop BB21_7 Depth=1
                                        ; =>  This Inner Loop Header: Depth=2
	global_load_dwordx2 v[4:5], v[2:3], off
	s_waitcnt vmcnt(0)
	v_cmp_neq_f64_e32 vcc, 0, v[4:5]
	s_and_saveexec_b64 s[8:9], vcc
	s_cbranch_execz .LBB21_240
; %bb.242:                              ;   in Loop: Header=BB21_241 Depth=2
	s_mov_b64 s[38:39], exec
	v_mbcnt_lo_u32_b32 v4, s38, 0
	v_mbcnt_hi_u32_b32 v4, s39, v4
	v_cmp_eq_u32_e32 vcc, 0, v4
	s_and_b64 s[12:13], exec, vcc
	s_mov_b64 exec, s[12:13]
	s_cbranch_execz .LBB21_240
; %bb.243:                              ;   in Loop: Header=BB21_241 Depth=2
	s_bcnt1_i32_b64 s7, s[38:39]
	v_readlane_b32 s12, v72, 4
	v_mov_b32_e32 v4, s7
	v_readlane_b32 s13, v72, 5
	s_nop 4
	global_atomic_add v9, v4, s[12:13]
	s_branch .LBB21_240
.LBB21_244:
	s_endpgm
.LBB21_245:
                                        ; implicit-def: $sgpr2_sgpr3
                                        ; kill: killed $sgpr2_sgpr3
	s_branch .LBB21_2
	.section	.rodata,"a",@progbits
	.p2align	6, 0x0
	.amdhsa_kernel _ZN9rocsolver6v33100L19stedcx_solve_kernelIdEEviPT_lS3_lS3_iilPiS3_S4_S2_S2_S2_
		.amdhsa_group_segment_fixed_size 48
		.amdhsa_private_segment_fixed_size 0
		.amdhsa_kernarg_size 368
		.amdhsa_user_sgpr_count 6
		.amdhsa_user_sgpr_private_segment_buffer 1
		.amdhsa_user_sgpr_dispatch_ptr 0
		.amdhsa_user_sgpr_queue_ptr 0
		.amdhsa_user_sgpr_kernarg_segment_ptr 1
		.amdhsa_user_sgpr_dispatch_id 0
		.amdhsa_user_sgpr_flat_scratch_init 0
		.amdhsa_user_sgpr_kernarg_preload_length 0
		.amdhsa_user_sgpr_kernarg_preload_offset 0
		.amdhsa_user_sgpr_private_segment_size 0
		.amdhsa_uses_dynamic_stack 0
		.amdhsa_system_sgpr_private_segment_wavefront_offset 0
		.amdhsa_system_sgpr_workgroup_id_x 1
		.amdhsa_system_sgpr_workgroup_id_y 1
		.amdhsa_system_sgpr_workgroup_id_z 1
		.amdhsa_system_sgpr_workgroup_info 0
		.amdhsa_system_vgpr_workitem_id 0
		.amdhsa_next_free_vgpr 73
		.amdhsa_next_free_sgpr 96
		.amdhsa_accum_offset 76
		.amdhsa_reserve_vcc 1
		.amdhsa_reserve_flat_scratch 0
		.amdhsa_float_round_mode_32 0
		.amdhsa_float_round_mode_16_64 0
		.amdhsa_float_denorm_mode_32 3
		.amdhsa_float_denorm_mode_16_64 3
		.amdhsa_dx10_clamp 1
		.amdhsa_ieee_mode 1
		.amdhsa_fp16_overflow 0
		.amdhsa_tg_split 0
		.amdhsa_exception_fp_ieee_invalid_op 0
		.amdhsa_exception_fp_denorm_src 0
		.amdhsa_exception_fp_ieee_div_zero 0
		.amdhsa_exception_fp_ieee_overflow 0
		.amdhsa_exception_fp_ieee_underflow 0
		.amdhsa_exception_fp_ieee_inexact 0
		.amdhsa_exception_int_div_zero 0
	.end_amdhsa_kernel
	.section	.text._ZN9rocsolver6v33100L19stedcx_solve_kernelIdEEviPT_lS3_lS3_iilPiS3_S4_S2_S2_S2_,"axG",@progbits,_ZN9rocsolver6v33100L19stedcx_solve_kernelIdEEviPT_lS3_lS3_iilPiS3_S4_S2_S2_S2_,comdat
.Lfunc_end21:
	.size	_ZN9rocsolver6v33100L19stedcx_solve_kernelIdEEviPT_lS3_lS3_iilPiS3_S4_S2_S2_S2_, .Lfunc_end21-_ZN9rocsolver6v33100L19stedcx_solve_kernelIdEEviPT_lS3_lS3_iilPiS3_S4_S2_S2_S2_
                                        ; -- End function
	.section	.AMDGPU.csdata,"",@progbits
; Kernel info:
; codeLenInByte = 14628
; NumSgprs: 100
; NumVgprs: 73
; NumAgprs: 0
; TotalNumVgprs: 73
; ScratchSize: 0
; MemoryBound: 0
; FloatMode: 240
; IeeeMode: 1
; LDSByteSize: 48 bytes/workgroup (compile time only)
; SGPRBlocks: 12
; VGPRBlocks: 9
; NumSGPRsForWavesPerEU: 100
; NumVGPRsForWavesPerEU: 73
; AccumOffset: 76
; Occupancy: 6
; WaveLimiterHint : 1
; COMPUTE_PGM_RSRC2:SCRATCH_EN: 0
; COMPUTE_PGM_RSRC2:USER_SGPR: 6
; COMPUTE_PGM_RSRC2:TRAP_HANDLER: 0
; COMPUTE_PGM_RSRC2:TGID_X_EN: 1
; COMPUTE_PGM_RSRC2:TGID_Y_EN: 1
; COMPUTE_PGM_RSRC2:TGID_Z_EN: 1
; COMPUTE_PGM_RSRC2:TIDIG_COMP_CNT: 0
; COMPUTE_PGM_RSRC3_GFX90A:ACCUM_OFFSET: 18
; COMPUTE_PGM_RSRC3_GFX90A:TG_SPLIT: 0
	.section	.text._ZN9rocsolver6v33100L26stedcx_mergePrepare_kernelIdEEviiPT_lS3_lS3_iilS3_S3_PiS2_,"axG",@progbits,_ZN9rocsolver6v33100L26stedcx_mergePrepare_kernelIdEEviiPT_lS3_lS3_iilS3_S3_PiS2_,comdat
	.globl	_ZN9rocsolver6v33100L26stedcx_mergePrepare_kernelIdEEviiPT_lS3_lS3_iilS3_S3_PiS2_ ; -- Begin function _ZN9rocsolver6v33100L26stedcx_mergePrepare_kernelIdEEviiPT_lS3_lS3_iilS3_S3_PiS2_
	.p2align	8
	.type	_ZN9rocsolver6v33100L26stedcx_mergePrepare_kernelIdEEviiPT_lS3_lS3_iilS3_S3_PiS2_,@function
_ZN9rocsolver6v33100L26stedcx_mergePrepare_kernelIdEEviiPT_lS3_lS3_iilS3_S3_PiS2_: ; @_ZN9rocsolver6v33100L26stedcx_mergePrepare_kernelIdEEviiPT_lS3_lS3_iilS3_S3_PiS2_
; %bb.0:
	s_load_dwordx4 s[20:23], s[4:5], 0x28
	s_load_dwordx8 s[12:19], s[4:5], 0x38
	s_load_dwordx2 s[0:1], s[4:5], 0x58
	s_mov_b32 s24, s7
	s_mov_b64 s[10:11], 0
	s_waitcnt lgkmcnt(0)
	s_cmp_lg_u64 s[20:21], 0
	s_cbranch_scc0 .LBB22_92
; %bb.1:
	s_ashr_i32 s3, s8, 31
	s_mul_i32 s2, s8, s13
	s_mul_hi_u32 s7, s8, s12
	s_add_i32 s2, s7, s2
	s_mul_i32 s7, s3, s12
	s_add_i32 s13, s2, s7
	s_mul_i32 s12, s8, s12
	s_ashr_i32 s27, s22, 31
	s_lshl_b64 s[12:13], s[12:13], 3
	s_mov_b32 s26, s22
	s_add_u32 s2, s20, s12
	s_addc_u32 s7, s21, s13
	s_lshl_b64 s[12:13], s[26:27], 3
	s_add_u32 s12, s2, s12
	s_addc_u32 s13, s7, s13
	s_andn2_b64 vcc, exec, s[10:11]
	s_cbranch_vccnz .LBB22_3
.LBB22_2:
	s_ashr_i32 s3, s8, 31
                                        ; implicit-def: $sgpr12_sgpr13
.LBB22_3:
	s_load_dwordx2 s[20:21], s[4:5], 0x0
	s_waitcnt lgkmcnt(0)
	s_mul_i32 s2, s21, 5
	s_add_i32 s2, s2, 2
	s_mul_i32 s10, s2, s8
	s_ashr_i32 s11, s10, 31
	s_lshl_b64 s[10:11], s[10:11], 2
	s_add_u32 s7, s18, s10
	s_addc_u32 s22, s19, s11
	s_ashr_i32 s27, s21, 31
	s_mov_b32 s26, s21
	s_lshl_b64 s[42:43], s[26:27], 2
	s_add_u32 s26, s7, s42
	s_addc_u32 s27, s22, s43
	s_load_dword s33, s[26:27], 0x4
	s_waitcnt lgkmcnt(0)
	s_cmp_ge_i32 s24, s33
	s_cbranch_scc1 .LBB22_91
; %bb.4:
	s_load_dwordx8 s[44:51], s[4:5], 0x8
	v_lshlrev_b32_e32 v1, 3, v0
	s_load_dword s4, s[4:5], 0x6c
	v_add_u32_e32 v28, 0, v1
	v_ldexp_f64 v[2:3], s[0:1], 3
	s_waitcnt lgkmcnt(0)
	s_mul_i32 s2, s8, s47
	s_mul_hi_u32 s9, s8, s46
	s_mul_i32 s25, s3, s46
	s_add_i32 s2, s9, s2
	s_mul_i32 s28, s8, s46
	s_add_i32 s29, s2, s25
	s_lshl_b64 s[28:29], s[28:29], 3
	s_mul_i32 s30, s8, s51
	s_add_u32 s58, s44, s28
	s_mul_hi_u32 s2, s8, s50
	s_addc_u32 s59, s45, s29
	s_add_i32 s2, s2, s30
	s_mul_i32 s3, s3, s50
	s_add_i32 s3, s2, s3
	s_mul_i32 s2, s8, s50
	s_lshl_b64 s[2:3], s[2:3], 3
	s_add_u32 s25, s48, s2
	s_addc_u32 s40, s49, s3
	s_add_u32 s60, s26, s42
	s_addc_u32 s61, s27, s43
	;; [unrolled: 2-line block ×3, first 2 shown]
	s_lshl_b32 s8, s8, 1
	s_mul_i32 s2, s8, s21
	s_ashr_i32 s3, s2, 31
	s_lshl_b64 s[2:3], s[2:3], 3
	s_add_u32 s62, s14, s2
	s_mul_i32 s14, s21, s21
	s_mul_i32 s2, s8, s14
	s_addc_u32 s63, s15, s3
	s_ashr_i32 s3, s2, 31
	s_lshl_b64 s[2:3], s[2:3], 3
	s_add_u32 s8, s16, s2
	s_mov_b32 s15, 0
	s_addc_u32 s9, s17, s3
	s_lshl_b64 s[2:3], s[14:15], 3
	s_add_u32 s14, s8, s2
	s_addc_u32 s64, s9, s3
	s_and_b32 s65, s4, 0xffff
	s_lshl_b32 s2, s65, 3
	s_add_i32 s66, s2, 0
	s_add_u32 s67, s12, -8
	s_addc_u32 s68, s13, -1
	s_bfe_u32 s72, s4, 0xf0001
	v_add_u32_e32 v29, s66, v1
	v_cvt_f32_u32_e32 v1, s72
	s_not_b32 s69, s20
	s_lshl_b32 s70, 1, s20
	s_lshl_b32 s71, 2, s20
	s_mul_i32 s8, s71, s6
	s_cmp_gt_i32 s70, 1
	s_cselect_b64 s[16:17], -1, 0
	s_ashr_i32 s9, s8, 31
	v_rcp_iflag_f32_e32 v1, v1
	s_cmp_gt_i32 s71, 1
	s_cselect_b64 s[28:29], -1, 0
	s_cmp_gt_i32 s21, 0
	s_cselect_b64 s[30:31], -1, 0
	s_cmp_eq_u32 s20, 1
	s_bfm_b32 s2, s20, 0
	s_cselect_b64 s[34:35], -1, 0
	s_cmp_lg_u32 s20, 1
	v_mul_f32_e32 v1, 0x4f7ffffe, v1
	s_cselect_b64 s[36:37], -1, 0
	s_and_b32 s73, s2, -2
	s_or_b32 s74, s2, 1
	v_cvt_u32_f32_e32 v1, v1
	s_cmp_lg_u32 s2, s73
	v_cmp_gt_u32_e64 s[2:3], s72, v0
	s_cselect_b64 s[38:39], -1, 0
	v_cndmask_b32_e64 v5, -8, 0, s[2:3]
	s_cmp_lg_u32 s20, 0
	v_cndmask_b32_e64 v4, -1, 0, s[2:3]
	v_mov_b32_e32 v6, s40
	v_add_co_u32_e32 v30, vcc, s25, v5
	s_cselect_b64 s[40:41], -1, 0
	s_sub_i32 s4, 0, s72
	v_addc_co_u32_e32 v31, vcc, v6, v4, vcc
	v_mul_lo_u32 v4, s4, v1
	v_mul_hi_u32 v4, v1, v4
	v_add_u32_e32 v1, v1, v4
	v_mul_hi_u32 v1, v0, v1
	v_mul_lo_u32 v4, v1, s72
	v_sub_u32_e32 v4, v0, v4
	v_add_u32_e32 v5, 1, v1
	v_cmp_le_u32_e32 vcc, s72, v4
	v_cndmask_b32_e32 v1, v1, v5, vcc
	v_subrev_u32_e32 v5, s72, v4
	v_cndmask_b32_e32 v4, v4, v5, vcc
	v_add_u32_e32 v5, 1, v1
	v_cmp_le_u32_e32 vcc, s72, v4
	s_add_i32 s75, s71, -1
	v_cndmask_b32_e32 v1, v1, v5, vcc
	v_mul_lo_u32 v4, v1, s72
	v_lshlrev_b32_e32 v1, s20, v1
	s_add_u32 s20, s44, 8
	s_addc_u32 s76, s45, 0
	s_add_u32 s77, s20, s42
	s_addc_u32 s78, s76, s43
	v_sub_u32_e32 v32, v0, v4
	v_add_u32_e32 v4, s8, v1
	s_add_u32 s10, s42, s10
	v_ashrrev_i32_e32 v5, 31, v4
	v_add_u32_e32 v1, 1, v4
	s_addc_u32 s11, s43, s11
	v_add3_u32 v6, s70, -2, v1
	v_lshlrev_b64 v[4:5], 2, v[4:5]
	s_add_u32 s25, s18, s10
	v_cmp_ge_i32_e64 s[4:5], v6, v1
	s_addc_u32 s42, s19, s11
	v_add_co_u32_e32 v6, vcc, s25, v4
	s_lshl_b32 s25, s65, 2
	v_mov_b32_e32 v1, s42
	s_and_b32 s79, s25, 0x3fff8
	s_add_i32 s81, s71, -2
	s_lshl_b64 s[42:43], s[8:9], 2
	s_add_u32 s8, s10, s42
	s_addc_u32 s9, s11, s43
	s_add_u32 s8, s8, s18
	v_addc_co_u32_e32 v1, vcc, v1, v5, vcc
	s_addc_u32 s9, s9, s19
	v_add_co_u32_e32 v33, vcc, 8, v6
	s_add_u32 s82, s8, 8
	s_mov_b32 s18, 0x667f3bcd
	s_mov_b32 s44, 0
	v_cmp_eq_u32_e64 s[0:1], 0, v0
	v_addc_co_u32_e32 v34, vcc, 0, v1, vcc
	s_mul_i32 s80, s23, s72
	s_addc_u32 s83, s9, 0
	v_mov_b32_e32 v6, 0
	s_mov_b32 s19, 0x3ff6a09e
	s_brev_b32 s45, 8
	v_mov_b32_e32 v35, 0x260
	v_mov_b32_e32 v36, 0xffffff80
	s_branch .LBB22_6
.LBB22_5:                               ;   in Loop: Header=BB22_6 Depth=1
	s_add_i32 s24, s24, 8
	s_cmp_ge_i32 s24, s33
	s_cbranch_scc1 .LBB22_91
.LBB22_6:                               ; =>This Loop Header: Depth=1
                                        ;     Child Loop BB22_16 Depth 2
                                        ;     Child Loop BB22_21 Depth 2
	;; [unrolled: 1-line block ×9, first 2 shown]
                                        ;       Child Loop BB22_51 Depth 3
                                        ;         Child Loop BB22_82 Depth 4
                                        ;     Child Loop BB22_87 Depth 2
	s_ashr_i32 s25, s24, 31
	s_lshl_b64 s[8:9], s[24:25], 2
	s_add_u32 s8, s7, s8
	s_addc_u32 s9, s22, s9
	s_barrier
	global_load_dwordx2 v[8:9], v6, s[8:9]
	s_mov_b32 s10, 0
	s_waitcnt vmcnt(0)
	v_readfirstlane_b32 s8, v8
	v_readfirstlane_b32 s9, v9
	s_sub_i32 s9, s9, s8
	s_cmp_lt_i32 s9, 3
	s_cbranch_scc1 .LBB22_11
; %bb.7:                                ;   in Loop: Header=BB22_6 Depth=1
	s_cmp_lt_u32 s9, 5
	s_mov_b32 s10, 1
	s_cbranch_scc1 .LBB22_11
; %bb.8:                                ;   in Loop: Header=BB22_6 Depth=1
	s_cmp_lt_u32 s9, 33
	s_mov_b32 s10, 2
	s_cbranch_scc1 .LBB22_11
; %bb.9:                                ;   in Loop: Header=BB22_6 Depth=1
	s_cmpk_lt_u32 s9, 0xe9
	s_mov_b32 s10, 4
	s_cbranch_scc1 .LBB22_11
; %bb.10:                               ;   in Loop: Header=BB22_6 Depth=1
	s_cmpk_lt_u32 s9, 0x128
	s_cselect_b32 s10, 5, 7
	s_cmpk_lt_u32 s9, 0x79b
	s_cselect_b32 s10, s10, 8
.LBB22_11:                              ;   in Loop: Header=BB22_6 Depth=1
	s_add_i32 s9, s10, s69
	s_lshl_b32 s10, 1, s9
	s_cmp_gt_i32 s9, -1
	s_cselect_b32 s9, s10, 0
	s_cmp_ge_i32 s6, s9
	s_cbranch_scc1 .LBB22_5
; %bb.12:                               ;   in Loop: Header=BB22_6 Depth=1
	s_ashr_i32 s9, s8, 31
	s_lshl_b64 s[10:11], s[8:9], 2
	s_add_u32 s25, s26, s10
	s_addc_u32 s52, s27, s11
	s_add_u32 s50, s60, s10
	s_addc_u32 s51, s61, s11
	v_mov_b32_e32 v1, s51
	v_add_co_u32_e32 v8, vcc, s50, v4
	v_addc_co_u32_e32 v9, vcc, v1, v5, vcc
	v_mov_b32_e32 v1, s52
	v_add_co_u32_e32 v14, vcc, s25, v4
	v_addc_co_u32_e32 v15, vcc, v1, v5, vcc
	global_load_dword v12, v[8:9], off offset:8
	global_load_dword v10, v[14:15], off offset:8
	s_andn2_b64 vcc, exec, s[16:17]
	s_cbranch_vccnz .LBB22_24
; %bb.13:                               ;   in Loop: Header=BB22_6 Depth=1
	s_and_b64 vcc, exec, s[36:37]
	s_cbranch_vccz .LBB22_18
; %bb.14:                               ;   in Loop: Header=BB22_6 Depth=1
	s_mov_b64 s[46:47], -1
	v_mov_b32_e32 v8, 1
	s_and_saveexec_b64 s[8:9], s[4:5]
	s_cbranch_execz .LBB22_19
; %bb.15:                               ;   in Loop: Header=BB22_6 Depth=1
	v_add_co_u32_e32 v1, vcc, 8, v14
	v_addc_co_u32_e32 v7, vcc, 0, v15, vcc
	v_add_co_u32_e32 v1, vcc, 4, v1
	v_addc_co_u32_e32 v7, vcc, 0, v7, vcc
	s_mov_b32 s46, 0
	v_mov_b32_e32 v8, 0
.LBB22_16:                              ;   Parent Loop BB22_6 Depth=1
                                        ; =>  This Inner Loop Header: Depth=2
	s_ashr_i32 s47, s46, 31
	s_lshl_b64 s[48:49], s[46:47], 2
	v_mov_b32_e32 v9, s49
	v_add_co_u32_e32 v14, vcc, s48, v1
	v_addc_co_u32_e32 v15, vcc, v7, v9, vcc
	global_load_dwordx2 v[14:15], v[14:15], off
	s_add_i32 s46, s46, 2
	s_cmp_lg_u32 s73, s46
	s_waitcnt vmcnt(0)
	v_add_u32_e32 v8, v15, v8
	v_add_u32_e32 v10, v14, v10
	s_cbranch_scc1 .LBB22_16
; %bb.17:                               ;   in Loop: Header=BB22_6 Depth=1
	v_add_u32_e32 v10, v10, v8
	v_mov_b32_e32 v8, s74
	s_orn2_b64 s[46:47], s[38:39], exec
	s_or_b64 exec, exec, s[8:9]
	s_and_saveexec_b64 s[8:9], s[46:47]
	s_cbranch_execnz .LBB22_20
	s_branch .LBB22_23
.LBB22_18:                              ;   in Loop: Header=BB22_6 Depth=1
	v_mov_b32_e32 v8, 1
	s_mov_b64 s[46:47], s[34:35]
	s_and_saveexec_b64 s[8:9], s[46:47]
	s_cbranch_execnz .LBB22_20
	s_branch .LBB22_23
.LBB22_19:                              ;   in Loop: Header=BB22_6 Depth=1
	s_or_b64 exec, exec, s[8:9]
	s_and_saveexec_b64 s[8:9], s[46:47]
	s_cbranch_execz .LBB22_23
.LBB22_20:                              ;   in Loop: Header=BB22_6 Depth=1
	v_ashrrev_i32_e32 v9, 31, v8
	v_lshlrev_b64 v[14:15], 2, v[8:9]
	v_mov_b32_e32 v1, s11
	v_add_co_u32_e32 v7, vcc, s10, v14
	v_addc_co_u32_e32 v1, vcc, v1, v15, vcc
	v_add_co_u32_e32 v14, vcc, v33, v7
	v_addc_co_u32_e32 v15, vcc, v34, v1, vcc
	v_sub_u32_e32 v1, s70, v8
	s_mov_b64 s[46:47], 0
.LBB22_21:                              ;   Parent Loop BB22_6 Depth=1
                                        ; =>  This Inner Loop Header: Depth=2
	global_load_dword v7, v[14:15], off
	v_add_co_u32_e32 v14, vcc, 4, v14
	v_addc_co_u32_e32 v15, vcc, 0, v15, vcc
	v_add_u32_e32 v1, -1, v1
	v_cmp_eq_u32_e32 vcc, 0, v1
	s_or_b64 s[46:47], vcc, s[46:47]
	s_waitcnt vmcnt(0)
	v_add_u32_e32 v10, v7, v10
	s_andn2_b64 exec, exec, s[46:47]
	s_cbranch_execnz .LBB22_21
; %bb.22:                               ;   in Loop: Header=BB22_6 Depth=1
	s_or_b64 exec, exec, s[46:47]
.LBB22_23:                              ;   in Loop: Header=BB22_6 Depth=1
	s_or_b64 exec, exec, s[8:9]
.LBB22_24:                              ;   in Loop: Header=BB22_6 Depth=1
	s_waitcnt vmcnt(0)
	v_add3_u32 v1, v12, v10, -1
	v_cndmask_b32_e64 v8, v12, v1, s[2:3]
	v_ashrrev_i32_e32 v9, 31, v8
	v_lshlrev_b64 v[8:9], 3, v[8:9]
	v_add_co_u32_e32 v8, vcc, v30, v8
	v_addc_co_u32_e32 v9, vcc, v31, v9, vcc
	global_load_dwordx2 v[8:9], v[8:9], off
	v_pk_mov_b32 v[14:15], 0, 0
	v_cmp_lt_i32_e32 vcc, v32, v10
	s_mov_b64 s[8:9], 0
	v_pk_mov_b32 v[16:17], v[14:15], v[14:15] op_sel:[0,1]
	s_and_saveexec_b64 s[46:47], vcc
	s_cbranch_execz .LBB22_30
; %bb.25:                               ;   in Loop: Header=BB22_6 Depth=1
	v_ashrrev_i32_e32 v13, 31, v12
	v_lshlrev_b64 v[14:15], 3, v[12:13]
	v_mov_b32_e32 v1, s68
	v_add_co_u32_e32 v7, vcc, s67, v14
	v_ashrrev_i32_e32 v11, 31, v10
	v_addc_co_u32_e32 v1, vcc, v1, v15, vcc
	v_lshlrev_b64 v[16:17], 3, v[10:11]
	v_add_co_u32_e32 v7, vcc, v7, v16
	v_addc_co_u32_e32 v1, vcc, v1, v17, vcc
	v_add_u32_e32 v18, v32, v12
	v_mov_b32_e32 v11, s13
	v_add_co_u32_e32 v13, vcc, s12, v14
	v_ashrrev_i32_e32 v19, 31, v18
	v_addc_co_u32_e32 v11, vcc, v11, v15, vcc
	v_cndmask_b32_e64 v14, v13, v7, s[2:3]
	v_lshlrev_b64 v[12:13], 3, v[18:19]
	v_mov_b32_e32 v7, s63
	v_add_co_u32_e32 v16, vcc, s62, v12
	v_cndmask_b32_e64 v1, v11, v1, s[2:3]
	v_addc_co_u32_e32 v17, vcc, v7, v13, vcc
	v_mul_lo_u32 v18, s23, v18
	v_mov_b32_e32 v7, v32
.LBB22_26:                              ;   Parent Loop BB22_6 Depth=1
                                        ; =>  This Inner Loop Header: Depth=2
	v_ashrrev_i32_e32 v19, 31, v18
	v_lshlrev_b64 v[20:21], 3, v[18:19]
	v_add_co_u32_e32 v20, vcc, v14, v20
	v_addc_co_u32_e32 v21, vcc, v1, v21, vcc
	flat_load_dwordx2 v[20:21], v[20:21]
	v_add_u32_e32 v7, s72, v7
	v_cmp_ge_i32_e32 vcc, v7, v10
	s_or_b64 s[8:9], vcc, s[8:9]
	v_mov_b32_e32 v11, s15
	v_add_u32_e32 v18, s80, v18
	s_waitcnt vmcnt(0) lgkmcnt(0)
	v_div_scale_f64 v[22:23], s[48:49], s[18:19], s[18:19], v[20:21]
	v_rcp_f64_e32 v[26:27], v[22:23]
	v_div_scale_f64 v[24:25], vcc, v[20:21], s[18:19], v[20:21]
	v_fma_f64 v[38:39], -v[22:23], v[26:27], 1.0
	v_fmac_f64_e32 v[26:27], v[26:27], v[38:39]
	v_fma_f64 v[38:39], -v[22:23], v[26:27], 1.0
	v_fmac_f64_e32 v[26:27], v[26:27], v[38:39]
	v_mul_f64 v[38:39], v[24:25], v[26:27]
	v_fma_f64 v[22:23], -v[22:23], v[38:39], v[24:25]
	v_div_fmas_f64 v[22:23], v[22:23], v[26:27], v[38:39]
	v_div_fixup_f64 v[20:21], v[22:23], s[18:19], v[20:21]
	global_store_dwordx2 v[16:17], v[20:21], off
	v_add_co_u32_e32 v16, vcc, s79, v16
	v_addc_co_u32_e32 v17, vcc, v17, v11, vcc
	s_andn2_b64 exec, exec, s[8:9]
	s_cbranch_execnz .LBB22_26
; %bb.27:                               ;   in Loop: Header=BB22_6 Depth=1
	s_or_b64 exec, exec, s[8:9]
	v_pk_mov_b32 v[14:15], 0, 0
	s_mov_b64 s[48:49], 0
	v_mov_b32_e32 v1, v32
	v_pk_mov_b32 v[16:17], v[14:15], v[14:15] op_sel:[0,1]
.LBB22_28:                              ;   Parent Loop BB22_6 Depth=1
                                        ; =>  This Inner Loop Header: Depth=2
	v_mov_b32_e32 v7, s59
	v_mov_b32_e32 v11, s63
	v_add_co_u32_e32 v18, vcc, s62, v12
	v_add_co_u32_e64 v20, s[8:9], s58, v12
	v_addc_co_u32_e64 v21, s[8:9], v7, v13, s[8:9]
	v_addc_co_u32_e32 v19, vcc, v11, v13, vcc
	global_load_dwordx2 v[20:21], v[20:21], off
	s_nop 0
	global_load_dwordx2 v[18:19], v[18:19], off
	v_mov_b32_e32 v7, s15
	v_add_co_u32_e32 v12, vcc, s79, v12
	v_add_u32_e32 v1, s72, v1
	v_addc_co_u32_e32 v13, vcc, v13, v7, vcc
	v_cmp_ge_i32_e32 vcc, v1, v10
	s_or_b64 s[48:49], vcc, s[48:49]
	s_waitcnt vmcnt(1)
	v_and_b32_e32 v7, 0x7fffffff, v21
	s_waitcnt vmcnt(0)
	v_and_b32_e32 v11, 0x7fffffff, v19
	v_cmp_gt_f64_e64 vcc, |v[18:19]|, v[14:15]
	v_cmp_gt_f64_e64 s[8:9], |v[20:21]|, v[16:17]
	v_cndmask_b32_e64 v17, v17, v7, s[8:9]
	v_cndmask_b32_e64 v16, v16, v20, s[8:9]
	v_cndmask_b32_e32 v15, v15, v11, vcc
	v_cndmask_b32_e32 v14, v14, v18, vcc
	s_andn2_b64 exec, exec, s[48:49]
	s_cbranch_execnz .LBB22_28
; %bb.29:                               ;   in Loop: Header=BB22_6 Depth=1
	s_or_b64 exec, exec, s[48:49]
.LBB22_30:                              ;   in Loop: Header=BB22_6 Depth=1
	s_or_b64 exec, exec, s[46:47]
	s_mov_b32 s46, s72
	ds_write_b64 v28, v[16:17]
	ds_write_b64 v29, v[14:15]
	s_waitcnt lgkmcnt(0)
	s_barrier
	s_branch .LBB22_32
.LBB22_31:                              ;   in Loop: Header=BB22_32 Depth=2
	s_or_b64 exec, exec, s[8:9]
	s_lshr_b32 s8, s46, 1
	s_cmp_gt_u32 s46, 1
	s_mov_b32 s46, s8
	s_waitcnt lgkmcnt(0)
	s_barrier
	s_cbranch_scc0 .LBB22_34
.LBB22_32:                              ;   Parent Loop BB22_6 Depth=1
                                        ; =>  This Inner Loop Header: Depth=2
	v_cmp_gt_u32_e32 vcc, s46, v0
	s_and_saveexec_b64 s[8:9], vcc
	s_cbranch_execz .LBB22_31
; %bb.33:                               ;   in Loop: Header=BB22_32 Depth=2
	s_lshl_b32 s47, s46, 3
	v_add_u32_e32 v1, s47, v28
	ds_read_b64 v[10:11], v1
	v_add_u32_e32 v1, s47, v29
	ds_read_b64 v[12:13], v1
	s_waitcnt lgkmcnt(1)
	v_cmp_gt_f64_e32 vcc, v[10:11], v[16:17]
	v_cndmask_b32_e32 v17, v17, v11, vcc
	v_cndmask_b32_e32 v16, v16, v10, vcc
	s_waitcnt lgkmcnt(0)
	v_cmp_gt_f64_e32 vcc, v[12:13], v[14:15]
	v_cndmask_b32_e32 v15, v15, v13, vcc
	v_cndmask_b32_e32 v14, v14, v12, vcc
	ds_write_b64 v28, v[16:17]
	ds_write_b64 v29, v[14:15]
	s_branch .LBB22_31
.LBB22_34:                              ;   in Loop: Header=BB22_6 Depth=1
	s_add_u32 s8, s25, s42
	s_addc_u32 s9, s52, s43
	global_load_dword v1, v6, s[8:9] offset:8
	v_mov_b32_e32 v7, s66
	ds_read_b64 v[10:11], v6
	ds_read_b64 v[12:13], v7
	s_add_u32 s8, s8, 8
	s_addc_u32 s9, s9, 0
	s_andn2_b64 vcc, exec, s[28:29]
	s_waitcnt vmcnt(0)
	v_readfirstlane_b32 s25, v1
	s_cbranch_vccnz .LBB22_42
; %bb.35:                               ;   in Loop: Header=BB22_6 Depth=1
	s_and_b64 vcc, exec, s[40:41]
	s_cbranch_vccz .LBB22_39
; %bb.36:                               ;   in Loop: Header=BB22_6 Depth=1
	s_add_u32 s46, s8, 4
	s_addc_u32 s47, s9, 0
	s_mov_b32 s8, 0
	s_mov_b32 s48, 0
.LBB22_37:                              ;   Parent Loop BB22_6 Depth=1
                                        ; =>  This Inner Loop Header: Depth=2
	s_ashr_i32 s9, s8, 31
	s_lshl_b64 s[52:53], s[8:9], 2
	s_add_u32 s52, s46, s52
	s_addc_u32 s53, s47, s53
	global_load_dwordx2 v[14:15], v6, s[52:53]
	s_add_i32 s8, s8, 2
	s_waitcnt vmcnt(0)
	v_readfirstlane_b32 s9, v15
	v_readfirstlane_b32 s49, v14
	s_add_i32 s48, s9, s48
	s_add_i32 s25, s49, s25
	s_cmp_lg_u32 s81, s8
	s_cbranch_scc1 .LBB22_37
; %bb.38:                               ;   in Loop: Header=BB22_6 Depth=1
	s_add_i32 s25, s25, s48
	s_mov_b32 s46, s75
	s_branch .LBB22_40
.LBB22_39:                              ;   in Loop: Header=BB22_6 Depth=1
	s_mov_b32 s46, 1
.LBB22_40:                              ;   in Loop: Header=BB22_6 Depth=1
	s_ashr_i32 s47, s46, 31
	s_lshl_b64 s[8:9], s[46:47], 2
	s_add_u32 s8, s10, s8
	s_addc_u32 s9, s11, s9
	s_add_u32 s8, s82, s8
	s_addc_u32 s9, s83, s9
	s_sub_i32 s10, s71, s46
.LBB22_41:                              ;   Parent Loop BB22_6 Depth=1
                                        ; =>  This Inner Loop Header: Depth=2
	global_load_dword v1, v6, s[8:9]
	s_waitcnt vmcnt(0)
	v_readfirstlane_b32 s11, v1
	s_add_i32 s25, s11, s25
	s_add_u32 s8, s8, 4
	s_addc_u32 s9, s9, 0
	s_add_i32 s10, s10, -1
	s_cmp_eq_u32 s10, 0
	s_cbranch_scc0 .LBB22_41
.LBB22_42:                              ;   in Loop: Header=BB22_6 Depth=1
	s_add_u32 s8, s50, s42
	s_addc_u32 s9, s51, s43
	global_load_dword v1, v6, s[8:9] offset:8
	s_waitcnt lgkmcnt(0)
	v_cmp_gt_f64_e32 vcc, v[12:13], v[10:11]
	v_cndmask_b32_e32 v11, v11, v13, vcc
	v_cndmask_b32_e32 v10, v10, v12, vcc
	v_add_f64 v[8:9], v[8:9], v[8:9]
	v_mul_f64 v[10:11], v[2:3], v[10:11]
	v_cmp_gt_i32_e32 vcc, s25, v0
	s_waitcnt vmcnt(0)
	v_readfirstlane_b32 s46, v1
	s_and_saveexec_b64 s[8:9], vcc
	s_cbranch_execz .LBB22_45
; %bb.43:                               ;   in Loop: Header=BB22_6 Depth=1
	s_mov_b64 s[10:11], 0
	v_mov_b32_e32 v1, v0
.LBB22_44:                              ;   Parent Loop BB22_6 Depth=1
                                        ; =>  This Inner Loop Header: Depth=2
	v_add_u32_e32 v12, s46, v1
	v_ashrrev_i32_e32 v13, 31, v12
	v_lshlrev_b64 v[14:15], 3, v[12:13]
	v_mov_b32_e32 v7, s63
	v_add_co_u32_e32 v14, vcc, s62, v14
	v_addc_co_u32_e32 v15, vcc, v7, v15, vcc
	global_load_dwordx2 v[14:15], v[14:15], off
	v_add_u32_e32 v1, s65, v1
	v_cmp_le_i32_e32 vcc, s25, v1
	v_lshlrev_b64 v[12:13], 2, v[12:13]
	v_mov_b32_e32 v7, s76
	s_or_b64 s[10:11], vcc, s[10:11]
	v_add_co_u32_e32 v12, vcc, s20, v12
	v_addc_co_u32_e32 v13, vcc, v7, v13, vcc
	s_waitcnt vmcnt(0)
	v_mul_f64 v[14:15], v[8:9], v[14:15]
	v_cmp_nle_f64_e64 s[48:49], |v[14:15]|, v[10:11]
	v_cndmask_b32_e64 v7, 0, 1, s[48:49]
	global_store_dword v[12:13], v7, off
	s_andn2_b64 exec, exec, s[10:11]
	s_cbranch_execnz .LBB22_44
.LBB22_45:                              ;   in Loop: Header=BB22_6 Depth=1
	s_or_b64 exec, exec, s[8:9]
	s_and_b32 s8, s25, 0x80000001
	s_cmp_eq_u32 s8, 1
	s_cselect_b64 s[8:9], -1, 0
	s_cmp_lg_u64 s[8:9], 0
	s_addc_u32 s47, s25, 0
	s_cmp_lt_i32 s47, 2
	s_barrier
	s_cbranch_scc1 .LBB22_83
; %bb.46:                               ;   in Loop: Header=BB22_6 Depth=1
	s_lshr_b32 s8, s47, 31
	s_add_i32 s8, s47, s8
	s_ashr_i32 s84, s8, 1
	s_add_i32 s85, s47, -1
	v_cmp_gt_i32_e64 s[8:9], s84, v0
	s_add_i32 s86, s84, -1
	s_add_i32 s87, s47, -2
	s_mov_b32 s88, 0
	s_branch .LBB22_48
.LBB22_47:                              ;   in Loop: Header=BB22_48 Depth=2
	s_or_b64 exec, exec, s[48:49]
	s_add_i32 s88, s88, 1
	s_cmp_eq_u32 s88, s85
	s_cbranch_scc1 .LBB22_83
.LBB22_48:                              ;   Parent Loop BB22_6 Depth=1
                                        ; =>  This Loop Header: Depth=2
                                        ;       Child Loop BB22_51 Depth 3
                                        ;         Child Loop BB22_82 Depth 4
	s_and_saveexec_b64 s[48:49], s[8:9]
	s_cbranch_execz .LBB22_47
; %bb.49:                               ;   in Loop: Header=BB22_48 Depth=2
	s_mov_b64 s[50:51], 0
	v_mov_b32_e32 v1, v0
	s_branch .LBB22_51
.LBB22_50:                              ;   in Loop: Header=BB22_51 Depth=3
	s_or_b64 exec, exec, s[52:53]
	v_add_u32_e32 v1, s65, v1
	v_cmp_le_i32_e32 vcc, s84, v1
	s_or_b64 s[50:51], vcc, s[50:51]
	s_waitcnt lgkmcnt(0)
	s_barrier
	s_andn2_b64 exec, exec, s[50:51]
	s_cbranch_execz .LBB22_47
.LBB22_51:                              ;   Parent Loop BB22_6 Depth=1
                                        ;     Parent Loop BB22_48 Depth=2
                                        ; =>    This Loop Header: Depth=3
                                        ;         Child Loop BB22_82 Depth 4
	v_cmp_ne_u32_e32 vcc, 0, v1
	v_mov_b32_e32 v7, 0
	s_and_saveexec_b64 s[10:11], vcc
	s_cbranch_execz .LBB22_59
; %bb.52:                               ;   in Loop: Header=BB22_51 Depth=3
	v_subrev_u32_e32 v12, s88, v1
	v_lshlrev_b32_e32 v7, 1, v12
	v_cmp_ge_u32_e32 vcc, s88, v1
	s_and_saveexec_b64 s[52:53], vcc
	s_cbranch_execz .LBB22_58
; %bb.53:                               ;   in Loop: Header=BB22_51 Depth=3
	v_add_u32_e32 v13, s86, v1
	v_cmp_le_i32_e32 vcc, s88, v13
	s_and_saveexec_b64 s[54:55], vcc
	s_xor_b64 s[54:55], exec, s[54:55]
; %bb.54:                               ;   in Loop: Header=BB22_51 Depth=3
	v_sub_u32_e32 v7, 1, v7
                                        ; implicit-def: $vgpr12
; %bb.55:                               ;   in Loop: Header=BB22_51 Depth=3
	s_andn2_saveexec_b64 s[54:55], s[54:55]
; %bb.56:                               ;   in Loop: Header=BB22_51 Depth=3
	v_add_lshl_u32 v7, v12, s85, 1
; %bb.57:                               ;   in Loop: Header=BB22_51 Depth=3
	s_or_b64 exec, exec, s[54:55]
.LBB22_58:                              ;   in Loop: Header=BB22_51 Depth=3
	s_or_b64 exec, exec, s[52:53]
.LBB22_59:                              ;   in Loop: Header=BB22_51 Depth=3
	s_or_b64 exec, exec, s[10:11]
	v_sub_u32_e32 v13, s84, v1
	v_add_u32_e32 v12, s88, v1
	v_cmp_ge_i32_e32 vcc, s88, v13
                                        ; implicit-def: $vgpr14
	s_and_saveexec_b64 s[10:11], vcc
	s_xor_b64 s[10:11], exec, s[10:11]
	s_cbranch_execz .LBB22_65
; %bb.60:                               ;   in Loop: Header=BB22_51 Depth=3
	v_sub_u32_e32 v13, s87, v1
	v_cmp_le_i32_e32 vcc, s88, v13
                                        ; implicit-def: $vgpr14
	s_and_saveexec_b64 s[52:53], vcc
	s_xor_b64 s[52:53], exec, s[52:53]
; %bb.61:                               ;   in Loop: Header=BB22_51 Depth=3
	v_sub_u32_e32 v12, s85, v12
	v_lshlrev_b32_e32 v14, 1, v12
                                        ; implicit-def: $vgpr12
; %bb.62:                               ;   in Loop: Header=BB22_51 Depth=3
	s_andn2_saveexec_b64 s[52:53], s[52:53]
; %bb.63:                               ;   in Loop: Header=BB22_51 Depth=3
	v_subrev_u32_e32 v12, s47, v12
	v_lshl_add_u32 v14, v12, 1, 3
; %bb.64:                               ;   in Loop: Header=BB22_51 Depth=3
	s_or_b64 exec, exec, s[52:53]
                                        ; implicit-def: $vgpr12
.LBB22_65:                              ;   in Loop: Header=BB22_51 Depth=3
	s_andn2_saveexec_b64 s[10:11], s[10:11]
; %bb.66:                               ;   in Loop: Header=BB22_51 Depth=3
	v_lshl_or_b32 v14, v12, 1, 1
; %bb.67:                               ;   in Loop: Header=BB22_51 Depth=3
	s_or_b64 exec, exec, s[10:11]
	v_min_i32_e32 v12, v7, v14
	v_add_u32_e32 v12, s46, v12
	v_ashrrev_i32_e32 v13, 31, v12
	v_lshlrev_b64 v[16:17], 2, v[12:13]
	v_mov_b32_e32 v15, s76
	v_add_co_u32_e32 v16, vcc, s20, v16
	v_addc_co_u32_e32 v17, vcc, v15, v17, vcc
	global_load_dword v15, v[16:17], off
	s_waitcnt vmcnt(0)
	v_cmp_eq_u32_e32 vcc, 1, v15
	s_and_saveexec_b64 s[52:53], vcc
	s_cbranch_execz .LBB22_50
; %bb.68:                               ;   in Loop: Header=BB22_51 Depth=3
	v_max_i32_e32 v7, v7, v14
	v_add_u32_e32 v14, s46, v7
	v_ashrrev_i32_e32 v15, 31, v14
	v_lshlrev_b64 v[16:17], 2, v[14:15]
	v_mov_b32_e32 v18, s76
	v_add_co_u32_e32 v24, vcc, s20, v16
	v_addc_co_u32_e32 v25, vcc, v18, v17, vcc
	global_load_dword v16, v[24:25], off
	v_cmp_gt_i32_e64 s[10:11], s25, v7
	s_waitcnt vmcnt(0)
	v_cmp_eq_u32_e32 vcc, 1, v16
	s_and_b64 s[10:11], vcc, s[10:11]
	s_and_b64 exec, exec, s[10:11]
	s_cbranch_execz .LBB22_50
; %bb.69:                               ;   in Loop: Header=BB22_51 Depth=3
	v_lshlrev_b64 v[18:19], 3, v[12:13]
	v_mov_b32_e32 v7, s59
	v_add_co_u32_e32 v20, vcc, s58, v18
	v_addc_co_u32_e32 v21, vcc, v7, v19, vcc
	v_lshlrev_b64 v[16:17], 3, v[14:15]
	v_add_co_u32_e32 v22, vcc, s58, v16
	v_addc_co_u32_e32 v23, vcc, v7, v17, vcc
	global_load_dwordx2 v[20:21], v[20:21], off
	s_nop 0
	global_load_dwordx2 v[22:23], v[22:23], off
	s_waitcnt vmcnt(0)
	v_add_f64 v[20:21], v[20:21], -v[22:23]
	v_cmp_le_f64_e64 s[10:11], |v[20:21]|, v[10:11]
	s_and_b64 exec, exec, s[10:11]
	s_cbranch_execz .LBB22_50
; %bb.70:                               ;   in Loop: Header=BB22_51 Depth=3
	v_mov_b32_e32 v7, s63
	v_add_co_u32_e32 v16, vcc, s62, v16
	v_addc_co_u32_e32 v17, vcc, v7, v17, vcc
	v_add_co_u32_e32 v18, vcc, s62, v18
	global_load_dwordx2 v[22:23], v[16:17], off
	v_addc_co_u32_e32 v19, vcc, v7, v19, vcc
	global_load_dwordx2 v[20:21], v[18:19], off
	v_mov_b32_e32 v26, 0
	global_store_dword v[24:25], v6, off
	v_mov_b32_e32 v27, 0x3ff00000
	v_pk_mov_b32 v[24:25], 0, 0
	s_waitcnt vmcnt(2)
	v_cmp_neq_f64_e32 vcc, 0, v[22:23]
	s_and_saveexec_b64 s[10:11], vcc
	s_cbranch_execz .LBB22_80
; %bb.71:                               ;   in Loop: Header=BB22_51 Depth=3
	s_waitcnt vmcnt(1)
	v_cmp_neq_f64_e32 vcc, 0, v[20:21]
                                        ; implicit-def: $vgpr24_vgpr25
                                        ; implicit-def: $vgpr26_vgpr27
	s_and_saveexec_b64 s[54:55], vcc
	s_xor_b64 s[54:55], exec, s[54:55]
	s_cbranch_execz .LBB22_77
; %bb.72:                               ;   in Loop: Header=BB22_51 Depth=3
	v_cmp_ngt_f64_e64 s[56:57], |v[22:23]|, |v[20:21]|
                                        ; implicit-def: $vgpr24_vgpr25
                                        ; implicit-def: $vgpr26_vgpr27
	s_and_saveexec_b64 s[90:91], s[56:57]
	s_xor_b64 s[56:57], exec, s[90:91]
	s_cbranch_execz .LBB22_74
; %bb.73:                               ;   in Loop: Header=BB22_51 Depth=3
	v_div_scale_f64 v[24:25], s[90:91], v[20:21], v[20:21], -v[22:23]
	v_rcp_f64_e32 v[26:27], v[24:25]
	v_div_scale_f64 v[38:39], vcc, -v[22:23], v[20:21], -v[22:23]
	v_fma_f64 v[40:41], -v[24:25], v[26:27], 1.0
	v_fmac_f64_e32 v[26:27], v[26:27], v[40:41]
	v_fma_f64 v[40:41], -v[24:25], v[26:27], 1.0
	v_fmac_f64_e32 v[26:27], v[26:27], v[40:41]
	v_mul_f64 v[40:41], v[38:39], v[26:27]
	v_fma_f64 v[24:25], -v[24:25], v[40:41], v[38:39]
	v_div_fmas_f64 v[24:25], v[24:25], v[26:27], v[40:41]
	v_div_fixup_f64 v[24:25], v[24:25], v[20:21], -v[22:23]
	v_fma_f64 v[26:27], v[24:25], v[24:25], 1.0
	v_cmp_gt_f64_e32 vcc, s[44:45], v[26:27]
	v_cndmask_b32_e64 v7, 0, 1, vcc
	v_lshlrev_b32_e32 v7, 8, v7
	v_ldexp_f64 v[26:27], v[26:27], v7
	v_rsq_f64_e32 v[38:39], v[26:27]
	v_cndmask_b32_e32 v7, 0, v36, vcc
	v_cmp_class_f64_e32 vcc, v[26:27], v35
	v_mul_f64 v[40:41], v[26:27], v[38:39]
	v_mul_f64 v[38:39], v[38:39], 0.5
	v_fma_f64 v[42:43], -v[38:39], v[40:41], 0.5
	v_fmac_f64_e32 v[40:41], v[40:41], v[42:43]
	v_fma_f64 v[44:45], -v[40:41], v[40:41], v[26:27]
	v_fmac_f64_e32 v[38:39], v[38:39], v[42:43]
	v_fmac_f64_e32 v[40:41], v[44:45], v[38:39]
	v_fma_f64 v[42:43], -v[40:41], v[40:41], v[26:27]
	v_fmac_f64_e32 v[40:41], v[42:43], v[38:39]
	v_ldexp_f64 v[38:39], v[40:41], v7
	v_cndmask_b32_e32 v27, v39, v27, vcc
	v_cndmask_b32_e32 v26, v38, v26, vcc
	v_div_scale_f64 v[38:39], s[90:91], v[26:27], v[26:27], 1.0
	v_rcp_f64_e32 v[40:41], v[38:39]
	v_fma_f64 v[42:43], -v[38:39], v[40:41], 1.0
	v_fmac_f64_e32 v[40:41], v[40:41], v[42:43]
	v_fma_f64 v[42:43], -v[38:39], v[40:41], 1.0
	v_fmac_f64_e32 v[40:41], v[40:41], v[42:43]
	v_div_scale_f64 v[42:43], vcc, 1.0, v[26:27], 1.0
	v_mul_f64 v[44:45], v[42:43], v[40:41]
	v_fma_f64 v[38:39], -v[38:39], v[44:45], v[42:43]
	s_nop 1
	v_div_fmas_f64 v[38:39], v[38:39], v[40:41], v[44:45]
	v_div_fixup_f64 v[26:27], v[38:39], v[26:27], 1.0
	v_mul_f64 v[24:25], v[24:25], v[26:27]
.LBB22_74:                              ;   in Loop: Header=BB22_51 Depth=3
	s_andn2_saveexec_b64 s[56:57], s[56:57]
	s_cbranch_execz .LBB22_76
; %bb.75:                               ;   in Loop: Header=BB22_51 Depth=3
	v_div_scale_f64 v[24:25], s[90:91], v[22:23], v[22:23], -v[20:21]
	v_rcp_f64_e32 v[26:27], v[24:25]
	v_div_scale_f64 v[38:39], vcc, -v[20:21], v[22:23], -v[20:21]
	v_fma_f64 v[40:41], -v[24:25], v[26:27], 1.0
	v_fmac_f64_e32 v[26:27], v[26:27], v[40:41]
	v_fma_f64 v[40:41], -v[24:25], v[26:27], 1.0
	v_fmac_f64_e32 v[26:27], v[26:27], v[40:41]
	v_mul_f64 v[40:41], v[38:39], v[26:27]
	v_fma_f64 v[24:25], -v[24:25], v[40:41], v[38:39]
	v_div_fmas_f64 v[24:25], v[24:25], v[26:27], v[40:41]
	v_div_fixup_f64 v[26:27], v[24:25], v[22:23], -v[20:21]
	v_fma_f64 v[24:25], v[26:27], v[26:27], 1.0
	v_cmp_gt_f64_e32 vcc, s[44:45], v[24:25]
	v_cndmask_b32_e64 v7, 0, 1, vcc
	v_lshlrev_b32_e32 v7, 8, v7
	v_ldexp_f64 v[24:25], v[24:25], v7
	v_rsq_f64_e32 v[38:39], v[24:25]
	v_cndmask_b32_e32 v7, 0, v36, vcc
	v_cmp_class_f64_e32 vcc, v[24:25], v35
	v_mul_f64 v[40:41], v[24:25], v[38:39]
	v_mul_f64 v[38:39], v[38:39], 0.5
	v_fma_f64 v[42:43], -v[38:39], v[40:41], 0.5
	v_fmac_f64_e32 v[40:41], v[40:41], v[42:43]
	v_fma_f64 v[44:45], -v[40:41], v[40:41], v[24:25]
	v_fmac_f64_e32 v[38:39], v[38:39], v[42:43]
	v_fmac_f64_e32 v[40:41], v[44:45], v[38:39]
	v_fma_f64 v[42:43], -v[40:41], v[40:41], v[24:25]
	v_fmac_f64_e32 v[40:41], v[42:43], v[38:39]
	v_ldexp_f64 v[38:39], v[40:41], v7
	v_cndmask_b32_e32 v25, v39, v25, vcc
	v_cndmask_b32_e32 v24, v38, v24, vcc
	v_div_scale_f64 v[38:39], s[90:91], v[24:25], v[24:25], 1.0
	v_rcp_f64_e32 v[40:41], v[38:39]
	v_fma_f64 v[42:43], -v[38:39], v[40:41], 1.0
	v_fmac_f64_e32 v[40:41], v[40:41], v[42:43]
	v_fma_f64 v[42:43], -v[38:39], v[40:41], 1.0
	v_fmac_f64_e32 v[40:41], v[40:41], v[42:43]
	v_div_scale_f64 v[42:43], vcc, 1.0, v[24:25], 1.0
	v_mul_f64 v[44:45], v[42:43], v[40:41]
	v_fma_f64 v[38:39], -v[38:39], v[44:45], v[42:43]
	s_nop 1
	v_div_fmas_f64 v[38:39], v[38:39], v[40:41], v[44:45]
	v_div_fixup_f64 v[24:25], v[38:39], v[24:25], 1.0
	v_mul_f64 v[26:27], v[26:27], v[24:25]
.LBB22_76:                              ;   in Loop: Header=BB22_51 Depth=3
	s_or_b64 exec, exec, s[56:57]
	v_mul_f64 v[22:23], v[22:23], v[24:25]
	v_fma_f64 v[20:21], v[20:21], v[26:27], -v[22:23]
                                        ; implicit-def: $vgpr22_vgpr23
.LBB22_77:                              ;   in Loop: Header=BB22_51 Depth=3
	s_andn2_saveexec_b64 s[54:55], s[54:55]
; %bb.78:                               ;   in Loop: Header=BB22_51 Depth=3
	v_xor_b32_e32 v23, 0x80000000, v23
	v_mov_b32_e32 v24, 0
	v_mov_b32_e32 v25, 0x3ff00000
	v_pk_mov_b32 v[26:27], 0, 0
	v_pk_mov_b32 v[20:21], v[22:23], v[22:23] op_sel:[0,1]
; %bb.79:                               ;   in Loop: Header=BB22_51 Depth=3
	s_or_b64 exec, exec, s[54:55]
.LBB22_80:                              ;   in Loop: Header=BB22_51 Depth=3
	s_or_b64 exec, exec, s[10:11]
	v_mov_b32_e32 v7, v6
	s_andn2_b64 vcc, exec, s[30:31]
	s_waitcnt vmcnt(1)
	global_store_dwordx2 v[18:19], v[20:21], off
	global_store_dwordx2 v[16:17], v[6:7], off
	s_cbranch_vccnz .LBB22_50
; %bb.81:                               ;   in Loop: Header=BB22_51 Depth=3
	v_mul_lo_u32 v16, v12, s23
	v_mul_lo_u32 v12, v14, s23
	v_ashrrev_i32_e32 v13, 31, v12
	v_lshlrev_b64 v[12:13], 3, v[12:13]
	v_mov_b32_e32 v7, s13
	v_add_co_u32_e32 v12, vcc, s12, v12
	v_ashrrev_i32_e32 v17, 31, v16
	v_addc_co_u32_e32 v13, vcc, v7, v13, vcc
	v_lshlrev_b64 v[14:15], 3, v[16:17]
	v_add_co_u32_e32 v14, vcc, s12, v14
	v_addc_co_u32_e32 v15, vcc, v7, v15, vcc
	s_mov_b32 s10, s21
.LBB22_82:                              ;   Parent Loop BB22_6 Depth=1
                                        ;     Parent Loop BB22_48 Depth=2
                                        ;       Parent Loop BB22_51 Depth=3
                                        ; =>      This Inner Loop Header: Depth=4
	flat_load_dwordx2 v[16:17], v[12:13]
	flat_load_dwordx2 v[18:19], v[14:15]
	s_add_i32 s10, s10, -1
	s_cmp_lg_u32 s10, 0
	s_waitcnt vmcnt(0) lgkmcnt(0)
	v_mul_f64 v[20:21], v[24:25], v[16:17]
	v_mul_f64 v[16:17], v[26:27], v[16:17]
	v_fma_f64 v[20:21], v[26:27], v[18:19], -v[20:21]
	v_fmac_f64_e32 v[16:17], v[24:25], v[18:19]
	flat_store_dwordx2 v[14:15], v[20:21]
	flat_store_dwordx2 v[12:13], v[16:17]
	v_add_co_u32_e32 v12, vcc, 8, v12
	v_addc_co_u32_e32 v13, vcc, 0, v13, vcc
	v_add_co_u32_e32 v14, vcc, 8, v14
	v_addc_co_u32_e32 v15, vcc, 0, v15, vcc
	s_cbranch_scc1 .LBB22_82
	s_branch .LBB22_50
.LBB22_83:                              ;   in Loop: Header=BB22_6 Depth=1
	s_cmp_lt_i32 s25, 1
	s_cbranch_scc1 .LBB22_5
; %bb.84:                               ;   in Loop: Header=BB22_6 Depth=1
	s_mul_i32 s8, s46, s21
	s_ashr_i32 s9, s8, 31
	s_lshl_b64 s[8:9], s[8:9], 3
	s_add_u32 s84, s14, s8
	s_addc_u32 s85, s64, s9
	s_ashr_i32 s47, s46, 31
	s_lshl_b64 s[8:9], s[46:47], 3
	s_add_u32 s10, s58, s8
	s_addc_u32 s11, s59, s9
	s_add_u32 s48, s62, s8
	s_addc_u32 s49, s63, s9
	s_lshl_b64 s[50:51], s[46:47], 2
	s_add_u32 s46, s20, s50
	s_addc_u32 s47, s76, s51
	s_add_u32 s86, s77, s50
	v_cmp_gt_f64_e64 s[8:9], 0, v[8:9]
	s_addc_u32 s87, s78, s51
	s_mov_b32 s88, 0
	s_mov_b64 s[50:51], s[48:49]
	s_mov_b32 s52, 0
	s_branch .LBB22_87
.LBB22_85:                              ;   in Loop: Header=BB22_87 Depth=2
	s_or_b64 exec, exec, s[54:55]
	s_add_i32 s52, s52, 1
.LBB22_86:                              ;   in Loop: Header=BB22_87 Depth=2
	s_add_i32 s88, s88, 1
	s_add_u32 s46, s46, 4
	s_addc_u32 s47, s47, 0
	s_add_u32 s10, s10, 8
	s_addc_u32 s11, s11, 0
	;; [unrolled: 2-line block ×3, first 2 shown]
	s_cmp_lg_u32 s25, s88
	s_cbranch_scc0 .LBB22_5
.LBB22_87:                              ;   Parent Loop BB22_6 Depth=1
                                        ; =>  This Inner Loop Header: Depth=2
	global_load_dword v1, v6, s[46:47]
	s_waitcnt vmcnt(0)
	v_cmp_ne_u32_e32 vcc, 1, v1
	s_cbranch_vccnz .LBB22_86
; %bb.88:                               ;   in Loop: Header=BB22_87 Depth=2
	s_and_saveexec_b64 s[54:55], s[0:1]
	s_cbranch_execz .LBB22_85
; %bb.89:                               ;   in Loop: Header=BB22_87 Depth=2
	global_load_dwordx2 v[8:9], v6, s[10:11]
	s_ashr_i32 s53, s52, 31
	s_lshl_b64 s[56:57], s[52:53], 2
	s_add_u32 s90, s86, s56
	v_mov_b32_e32 v1, s88
	s_addc_u32 s91, s87, s57
	s_lshl_b64 s[56:57], s[52:53], 3
	global_store_dword v6, v1, s[90:91]
	s_add_u32 s90, s84, s56
	s_addc_u32 s91, s85, s57
	s_cmp_eq_u32 s88, s52
	s_waitcnt vmcnt(1)
	v_xor_b32_e32 v1, 0x80000000, v9
	v_cndmask_b32_e64 v8, v8, v8, s[8:9]
	v_cndmask_b32_e64 v9, v9, v1, s[8:9]
	global_store_dwordx2 v6, v[8:9], s[90:91]
	s_cbranch_scc1 .LBB22_85
; %bb.90:                               ;   in Loop: Header=BB22_87 Depth=2
	global_load_dwordx2 v[8:9], v6, s[50:51]
	s_add_u32 s56, s48, s56
	s_addc_u32 s57, s49, s57
	s_waitcnt vmcnt(0)
	global_store_dwordx2 v6, v[8:9], s[56:57]
	s_branch .LBB22_85
.LBB22_91:
	s_endpgm
.LBB22_92:
                                        ; implicit-def: $sgpr12_sgpr13
                                        ; implicit-def: $sgpr2_sgpr3
	s_branch .LBB22_2
	.section	.rodata,"a",@progbits
	.p2align	6, 0x0
	.amdhsa_kernel _ZN9rocsolver6v33100L26stedcx_mergePrepare_kernelIdEEviiPT_lS3_lS3_iilS3_S3_PiS2_
		.amdhsa_group_segment_fixed_size 0
		.amdhsa_private_segment_fixed_size 0
		.amdhsa_kernarg_size 352
		.amdhsa_user_sgpr_count 6
		.amdhsa_user_sgpr_private_segment_buffer 1
		.amdhsa_user_sgpr_dispatch_ptr 0
		.amdhsa_user_sgpr_queue_ptr 0
		.amdhsa_user_sgpr_kernarg_segment_ptr 1
		.amdhsa_user_sgpr_dispatch_id 0
		.amdhsa_user_sgpr_flat_scratch_init 0
		.amdhsa_user_sgpr_kernarg_preload_length 0
		.amdhsa_user_sgpr_kernarg_preload_offset 0
		.amdhsa_user_sgpr_private_segment_size 0
		.amdhsa_uses_dynamic_stack 0
		.amdhsa_system_sgpr_private_segment_wavefront_offset 0
		.amdhsa_system_sgpr_workgroup_id_x 1
		.amdhsa_system_sgpr_workgroup_id_y 1
		.amdhsa_system_sgpr_workgroup_id_z 1
		.amdhsa_system_sgpr_workgroup_info 0
		.amdhsa_system_vgpr_workitem_id 0
		.amdhsa_next_free_vgpr 46
		.amdhsa_next_free_sgpr 92
		.amdhsa_accum_offset 48
		.amdhsa_reserve_vcc 1
		.amdhsa_reserve_flat_scratch 0
		.amdhsa_float_round_mode_32 0
		.amdhsa_float_round_mode_16_64 0
		.amdhsa_float_denorm_mode_32 3
		.amdhsa_float_denorm_mode_16_64 3
		.amdhsa_dx10_clamp 1
		.amdhsa_ieee_mode 1
		.amdhsa_fp16_overflow 0
		.amdhsa_tg_split 0
		.amdhsa_exception_fp_ieee_invalid_op 0
		.amdhsa_exception_fp_denorm_src 0
		.amdhsa_exception_fp_ieee_div_zero 0
		.amdhsa_exception_fp_ieee_overflow 0
		.amdhsa_exception_fp_ieee_underflow 0
		.amdhsa_exception_fp_ieee_inexact 0
		.amdhsa_exception_int_div_zero 0
	.end_amdhsa_kernel
	.section	.text._ZN9rocsolver6v33100L26stedcx_mergePrepare_kernelIdEEviiPT_lS3_lS3_iilS3_S3_PiS2_,"axG",@progbits,_ZN9rocsolver6v33100L26stedcx_mergePrepare_kernelIdEEviiPT_lS3_lS3_iilS3_S3_PiS2_,comdat
.Lfunc_end22:
	.size	_ZN9rocsolver6v33100L26stedcx_mergePrepare_kernelIdEEviiPT_lS3_lS3_iilS3_S3_PiS2_, .Lfunc_end22-_ZN9rocsolver6v33100L26stedcx_mergePrepare_kernelIdEEviiPT_lS3_lS3_iilS3_S3_PiS2_
                                        ; -- End function
	.section	.AMDGPU.csdata,"",@progbits
; Kernel info:
; codeLenInByte = 4180
; NumSgprs: 96
; NumVgprs: 46
; NumAgprs: 0
; TotalNumVgprs: 46
; ScratchSize: 0
; MemoryBound: 0
; FloatMode: 240
; IeeeMode: 1
; LDSByteSize: 0 bytes/workgroup (compile time only)
; SGPRBlocks: 11
; VGPRBlocks: 5
; NumSGPRsForWavesPerEU: 96
; NumVGPRsForWavesPerEU: 46
; AccumOffset: 48
; Occupancy: 8
; WaveLimiterHint : 1
; COMPUTE_PGM_RSRC2:SCRATCH_EN: 0
; COMPUTE_PGM_RSRC2:USER_SGPR: 6
; COMPUTE_PGM_RSRC2:TRAP_HANDLER: 0
; COMPUTE_PGM_RSRC2:TGID_X_EN: 1
; COMPUTE_PGM_RSRC2:TGID_Y_EN: 1
; COMPUTE_PGM_RSRC2:TGID_Z_EN: 1
; COMPUTE_PGM_RSRC2:TIDIG_COMP_CNT: 0
; COMPUTE_PGM_RSRC3_GFX90A:ACCUM_OFFSET: 11
; COMPUTE_PGM_RSRC3_GFX90A:TG_SPLIT: 0
	.section	.text._ZN9rocsolver6v33100L25stedcx_mergeValues_kernelIdEEviiPT_lS3_lS3_S3_PiS2_S2_S2_,"axG",@progbits,_ZN9rocsolver6v33100L25stedcx_mergeValues_kernelIdEEviiPT_lS3_lS3_S3_PiS2_S2_S2_,comdat
	.globl	_ZN9rocsolver6v33100L25stedcx_mergeValues_kernelIdEEviiPT_lS3_lS3_S3_PiS2_S2_S2_ ; -- Begin function _ZN9rocsolver6v33100L25stedcx_mergeValues_kernelIdEEviiPT_lS3_lS3_S3_PiS2_S2_S2_
	.p2align	8
	.type	_ZN9rocsolver6v33100L25stedcx_mergeValues_kernelIdEEviiPT_lS3_lS3_S3_PiS2_S2_S2_,@function
_ZN9rocsolver6v33100L25stedcx_mergeValues_kernelIdEEviiPT_lS3_lS3_S3_PiS2_S2_S2_: ; @_ZN9rocsolver6v33100L25stedcx_mergeValues_kernelIdEEviiPT_lS3_lS3_S3_PiS2_S2_S2_
; %bb.0:
	s_load_dwordx2 s[2:3], s[4:5], 0x0
	s_load_dwordx16 s[12:27], s[4:5], 0x8
                                        ; implicit-def: $vgpr80 : SGPR spill to VGPR lane
	s_mov_b32 s10, s6
	s_mov_b32 s28, s7
	s_waitcnt lgkmcnt(0)
	s_mul_i32 s0, s3, 5
	s_add_i32 s0, s0, 2
	s_mul_i32 s0, s0, s8
	s_ashr_i32 s1, s0, 31
	s_lshl_b64 s[0:1], s[0:1], 2
	s_add_u32 s30, s24, s0
	s_addc_u32 s31, s25, s1
	s_ashr_i32 s35, s3, 31
	v_writelane_b32 v80, s2, 0
	s_mov_b32 s34, s3
	v_writelane_b32 v80, s3, 1
	s_lshl_b64 s[2:3], s[34:35], 2
	s_add_u32 s6, s30, s2
	s_addc_u32 s7, s31, s3
	v_writelane_b32 v80, s6, 2
	s_load_dword s33, s[6:7], 0x4
	v_writelane_b32 v80, s7, 3
	s_waitcnt lgkmcnt(0)
	s_cmp_ge_i32 s28, s33
	s_cbranch_scc1 .LBB23_264
; %bb.1:
	s_ashr_i32 s9, s8, 31
	s_mul_i32 s6, s8, s15
	s_mul_hi_u32 s7, s8, s14
	s_add_i32 s6, s7, s6
	s_mul_i32 s7, s9, s14
	s_add_i32 s7, s6, s7
	s_mul_i32 s6, s8, s14
	s_lshl_b64 s[6:7], s[6:7], 3
	s_add_u32 s41, s12, s6
	s_addc_u32 s42, s13, s7
	s_mul_i32 s6, s8, s19
	s_mul_hi_u32 s7, s8, s18
	s_add_i32 s6, s7, s6
	s_mul_i32 s9, s9, s18
	s_add_i32 s7, s6, s9
	s_mul_i32 s6, s8, s18
	s_lshl_b64 s[6:7], s[6:7], 3
	s_add_u32 s6, s16, s6
	v_writelane_b32 v80, s6, 4
	s_addc_u32 s6, s17, s7
	v_writelane_b32 v80, s6, 5
	v_readlane_b32 s6, v80, 2
	v_readlane_b32 s7, v80, 3
	s_add_u32 s6, s6, s2
	s_addc_u32 s7, s7, s3
	v_writelane_b32 v80, s6, 6
	s_add_u32 s6, s6, s2
	s_load_dwordx2 s[12:13], s[4:5], 0x0
	v_writelane_b32 v80, s7, 7
	s_addc_u32 s7, s7, s3
	v_writelane_b32 v80, s6, 8
	s_add_u32 s6, s6, s2
	v_writelane_b32 v80, s6, 9
	v_writelane_b32 v80, s7, 10
	s_addc_u32 s6, s7, s3
	s_lshl_b32 s8, s8, 1
	v_writelane_b32 v80, s6, 11
	s_waitcnt lgkmcnt(0)
	s_mul_i32 s6, s8, s13
	s_ashr_i32 s7, s6, 31
	s_lshl_b64 s[6:7], s[6:7], 3
	s_add_u32 s11, s20, s6
	s_addc_u32 s14, s21, s7
	s_lshl_b64 s[18:19], s[34:35], 3
	s_mul_i32 s20, s13, s13
	s_add_u32 s39, s11, s18
	s_mul_i32 s6, s8, s20
	s_addc_u32 s43, s14, s19
	s_ashr_i32 s7, s6, 31
	s_mov_b32 s21, 0
	s_lshl_b64 s[6:7], s[6:7], 3
	s_lshl_b64 s[8:9], s[20:21], 3
	s_add_u32 s6, s6, s8
	s_addc_u32 s7, s7, s9
	s_add_u32 s6, s22, s6
	v_writelane_b32 v80, s6, 12
	s_addc_u32 s6, s23, s7
	v_writelane_b32 v80, s6, 13
	s_not_b32 s16, s12
	s_lshl_b32 s6, 1, s12
	s_lshl_b32 s7, 2, s12
	s_add_u32 s4, s4, 0x58
	s_addc_u32 s5, s5, 0
	v_writelane_b32 v80, s4, 14
	s_mul_i32 s8, s7, s10
	s_cmp_gt_i32 s6, 1
	v_writelane_b32 v80, s5, 15
	s_cselect_b64 s[4:5], -1, 0
	s_ashr_i32 s9, s8, 31
	v_writelane_b32 v80, s4, 16
	s_cmp_gt_i32 s7, 1
	v_writelane_b32 v80, s5, 17
	s_cselect_b64 s[4:5], -1, 0
	v_writelane_b32 v80, s4, 18
	v_writelane_b32 v80, s5, 19
	;; [unrolled: 1-line block ×3, first 2 shown]
	s_add_i32 s4, s6, -2
	v_writelane_b32 v80, s4, 21
	s_or_b32 s4, s8, 1
	s_cmp_eq_u32 s12, 1
	v_writelane_b32 v80, s4, 22
	s_cselect_b64 s[22:23], -1, 0
	v_writelane_b32 v80, s22, 23
	s_cmp_lg_u32 s12, 1
	s_bfm_b32 s4, s12, 0
	v_writelane_b32 v80, s23, 24
	s_cselect_b64 s[22:23], -1, 0
	v_writelane_b32 v80, s22, 25
	s_and_b32 s38, s4, -2
	s_or_b32 s5, s4, 1
	v_writelane_b32 v80, s23, 26
	s_cmp_lg_u32 s4, s38
	v_writelane_b32 v80, s5, 27
	s_cselect_b64 s[4:5], -1, 0
	v_writelane_b32 v80, s4, 28
	s_cmp_lg_u32 s12, 0
	v_writelane_b32 v80, s5, 29
	s_cselect_b64 s[4:5], -1, 0
	v_writelane_b32 v80, s4, 30
	v_writelane_b32 v80, s5, 31
	s_add_i32 s4, s7, -1
	s_add_u32 s2, s2, s0
	s_addc_u32 s3, s3, s1
	s_add_u32 s2, s2, s24
	s_addc_u32 s3, s3, s25
	v_writelane_b32 v80, s4, 32
	s_add_u32 s4, s2, 8
	s_addc_u32 s3, s3, 0
	v_writelane_b32 v80, s7, 33
	s_mov_b32 s2, s8
	v_writelane_b32 v80, s2, 34
	s_add_i32 s7, s7, -2
	v_writelane_b32 v80, s3, 35
	s_lshl_b64 s[52:53], s[8:9], 2
	v_writelane_b32 v80, s4, 36
	s_add_u32 s2, s4, s52
	v_writelane_b32 v80, s2, 37
	v_writelane_b32 v80, s3, 38
	s_addc_u32 s2, s3, s53
	v_writelane_b32 v80, s2, 39
	s_mul_i32 s2, s34, 12
	s_add_u32 s2, s2, s0
	s_mul_hi_i32 s3, s34, 12
	s_addc_u32 s3, s3, s1
	s_add_u32 s2, s2, s24
	s_addc_u32 s3, s3, s25
	s_add_u32 s2, s2, 8
	v_writelane_b32 v80, s2, 40
	s_addc_u32 s2, s3, 0
	v_writelane_b32 v80, s2, 41
	s_lshl_b64 s[2:3], s[34:35], 4
	s_add_u32 s0, s2, s0
	s_addc_u32 s1, s3, s1
	s_add_u32 s0, s0, s24
	s_addc_u32 s1, s1, s25
	s_add_u32 s0, s0, 8
	v_writelane_b32 v80, s0, 42
	s_addc_u32 s0, s1, 0
	v_writelane_b32 v80, s0, 43
	v_writelane_b32 v80, s11, 44
	s_add_u32 s0, s11, 8
	v_writelane_b32 v80, s0, 45
	v_writelane_b32 v80, s14, 46
	s_addc_u32 s0, s14, 0
	v_writelane_b32 v80, s0, 47
	v_cvt_f32_u32_e32 v64, v0
	v_writelane_b32 v80, s10, 48
	v_writelane_b32 v80, s30, 49
	s_mov_b32 s24, 0
	s_mov_b32 s54, 0
	;; [unrolled: 1-line block ×3, first 2 shown]
	v_writelane_b32 v80, s31, 50
	v_lshlrev_b32_e32 v11, 1, v0
	v_add_u32_e32 v65, s34, v0
	v_lshlrev_b32_e32 v10, 3, v0
	v_mov_b32_e32 v13, 0
	v_mov_b32_e32 v66, 0x260
	;; [unrolled: 1-line block ×3, first 2 shown]
	s_brev_b32 s25, 8
	s_mov_b32 s55, 0x40080000
	s_mov_b32 s57, 0x40240000
	v_writelane_b32 v80, s33, 51
	v_writelane_b32 v80, s16, 52
	s_branch .LBB23_4
.LBB23_2:                               ;   in Loop: Header=BB23_4 Depth=1
	s_or_b64 exec, exec, s[2:3]
	v_readlane_b32 s10, v80, 48
	v_readlane_b32 s30, v80, 49
	;; [unrolled: 1-line block ×4, first 2 shown]
.LBB23_3:                               ;   in Loop: Header=BB23_4 Depth=1
	s_add_i32 s28, s28, 8
	s_cmp_ge_i32 s28, s33
	s_cbranch_scc1 .LBB23_264
.LBB23_4:                               ; =>This Loop Header: Depth=1
                                        ;     Child Loop BB23_14 Depth 2
                                        ;     Child Loop BB23_19 Depth 2
	;; [unrolled: 1-line block ×7, first 2 shown]
                                        ;       Child Loop BB23_44 Depth 3
                                        ;     Child Loop BB23_49 Depth 2
                                        ;       Child Loop BB23_51 Depth 3
                                        ;     Child Loop BB23_55 Depth 2
                                        ;     Child Loop BB23_59 Depth 2
                                        ;       Child Loop BB23_65 Depth 3
                                        ;       Child Loop BB23_72 Depth 3
	;; [unrolled: 1-line block ×10, first 2 shown]
                                        ;         Child Loop BB23_176 Depth 4
                                        ;         Child Loop BB23_180 Depth 4
                                        ;       Child Loop BB23_186 Depth 3
                                        ;       Child Loop BB23_202 Depth 3
	;; [unrolled: 1-line block ×5, first 2 shown]
                                        ;         Child Loop BB23_246 Depth 4
                                        ;     Child Loop BB23_257 Depth 2
                                        ;       Child Loop BB23_261 Depth 3
	s_ashr_i32 s29, s28, 31
	s_lshl_b64 s[0:1], s[28:29], 2
	s_add_u32 s0, s30, s0
	s_addc_u32 s1, s31, s1
	s_barrier
	global_load_dwordx2 v[2:3], v13, s[0:1]
	s_mov_b32 s2, 0
	s_waitcnt vmcnt(0)
	v_readfirstlane_b32 s0, v2
	v_readfirstlane_b32 s1, v3
	s_sub_i32 s1, s1, s0
	s_cmp_lt_i32 s1, 3
	s_cbranch_scc1 .LBB23_9
; %bb.5:                                ;   in Loop: Header=BB23_4 Depth=1
	s_cmp_lt_u32 s1, 5
	s_mov_b32 s2, 1
	s_cbranch_scc1 .LBB23_9
; %bb.6:                                ;   in Loop: Header=BB23_4 Depth=1
	s_cmp_lt_u32 s1, 33
	s_mov_b32 s2, 2
	s_cbranch_scc1 .LBB23_9
; %bb.7:                                ;   in Loop: Header=BB23_4 Depth=1
	s_cmpk_lt_u32 s1, 0xe9
	s_mov_b32 s2, 4
	s_cbranch_scc1 .LBB23_9
; %bb.8:                                ;   in Loop: Header=BB23_4 Depth=1
	s_cmpk_lt_u32 s1, 0x128
	s_cselect_b32 s2, 5, 7
	s_cmpk_lt_u32 s1, 0x79b
	s_cselect_b32 s2, s2, 8
.LBB23_9:                               ;   in Loop: Header=BB23_4 Depth=1
	s_add_i32 s1, s2, s16
	s_lshl_b32 s2, 1, s1
	s_cmp_gt_i32 s1, -1
	s_cselect_b32 s1, s2, 0
	s_cmp_ge_i32 s10, s1
	s_cbranch_scc1 .LBB23_3
; %bb.10:                               ;   in Loop: Header=BB23_4 Depth=1
	v_readlane_b32 s2, v80, 14
	v_readlane_b32 s3, v80, 15
	s_ashr_i32 s1, s0, 31
	s_load_dword s6, s[2:3], 0xc
	s_lshl_b64 s[0:1], s[0:1], 2
	v_readlane_b32 s2, v80, 2
	v_readlane_b32 s3, v80, 3
	s_add_u32 s10, s2, s0
	s_addc_u32 s11, s3, s1
	v_readlane_b32 s2, v80, 6
	s_add_u32 s8, s2, s0
	v_readlane_b32 s2, v80, 7
	s_addc_u32 s9, s2, s1
	s_waitcnt lgkmcnt(0)
	s_bfe_u32 s12, s6, 0xf0001
	v_cvt_f32_u32_e32 v1, s12
	v_readlane_b32 s2, v80, 0
	v_readlane_b32 s3, v80, 1
	v_mov_b32_e32 v5, s9
	v_rcp_iflag_f32_e32 v2, v1
	v_mul_f32_e32 v2, v64, v2
	v_trunc_f32_e32 v2, v2
	v_cvt_u32_f32_e32 v3, v2
	v_mad_f32 v2, -v2, v1, v64
	v_cmp_ge_f32_e64 vcc, |v2|, v1
	v_addc_co_u32_e32 v1, vcc, 0, v3, vcc
	v_and_b32_e32 v1, 0x7fff, v1
	v_lshlrev_b32_e32 v4, s2, v1
	v_readlane_b32 s2, v80, 34
	v_add_u32_e32 v2, s2, v4
	v_ashrrev_i32_e32 v3, 31, v2
	v_lshlrev_b64 v[2:3], 2, v[2:3]
	v_add_co_u32_e32 v8, vcc, s8, v2
	v_addc_co_u32_e32 v9, vcc, v5, v3, vcc
	v_mov_b32_e32 v1, s11
	v_add_co_u32_e32 v6, vcc, s10, v2
	v_addc_co_u32_e32 v7, vcc, v1, v3, vcc
	global_load_dword v1, v[8:9], off offset:8
	s_nop 0
	global_load_dword v8, v[6:7], off offset:8
	v_readlane_b32 s3, v80, 35
	v_readlane_b32 s2, v80, 16
	;; [unrolled: 1-line block ×3, first 2 shown]
	s_andn2_b64 vcc, exec, s[2:3]
	s_cbranch_vccnz .LBB23_22
; %bb.11:                               ;   in Loop: Header=BB23_4 Depth=1
	v_readlane_b32 s2, v80, 25
	v_readlane_b32 s3, v80, 26
	s_and_b64 vcc, exec, s[2:3]
	s_cbranch_vccz .LBB23_16
; %bb.12:                               ;   in Loop: Header=BB23_4 Depth=1
	v_readlane_b32 s2, v80, 22
	v_add_u32_e32 v4, s2, v4
	v_readlane_b32 s2, v80, 21
	v_add_u32_e32 v5, s2, v4
	v_cmp_ge_i32_e32 vcc, v5, v4
	s_mov_b64 s[4:5], -1
	v_mov_b32_e32 v4, 1
	s_and_saveexec_b64 s[2:3], vcc
	s_cbranch_execz .LBB23_17
; %bb.13:                               ;   in Loop: Header=BB23_4 Depth=1
	v_add_co_u32_e32 v4, vcc, 8, v6
	v_addc_co_u32_e32 v5, vcc, 0, v7, vcc
	v_add_co_u32_e32 v4, vcc, 4, v4
	v_addc_co_u32_e32 v5, vcc, 0, v5, vcc
	s_mov_b32 s4, 0
	v_mov_b32_e32 v6, 0
.LBB23_14:                              ;   Parent Loop BB23_4 Depth=1
                                        ; =>  This Inner Loop Header: Depth=2
	s_ashr_i32 s5, s4, 31
	s_lshl_b64 s[14:15], s[4:5], 2
	v_mov_b32_e32 v7, s15
	v_add_co_u32_e32 v14, vcc, s14, v4
	v_addc_co_u32_e32 v15, vcc, v5, v7, vcc
	global_load_dwordx2 v[14:15], v[14:15], off
	s_add_i32 s4, s4, 2
	s_cmp_lg_u32 s38, s4
	s_waitcnt vmcnt(0)
	v_add_u32_e32 v6, v15, v6
	v_add_u32_e32 v8, v14, v8
	s_cbranch_scc1 .LBB23_14
; %bb.15:                               ;   in Loop: Header=BB23_4 Depth=1
	v_readlane_b32 s4, v80, 27
	v_mov_b32_e32 v4, s4
	v_readlane_b32 s4, v80, 28
	v_readlane_b32 s5, v80, 29
	v_add_u32_e32 v8, v8, v6
	s_orn2_b64 s[4:5], s[4:5], exec
	s_or_b64 exec, exec, s[2:3]
	s_and_saveexec_b64 s[2:3], s[4:5]
	s_cbranch_execnz .LBB23_18
	s_branch .LBB23_21
.LBB23_16:                              ;   in Loop: Header=BB23_4 Depth=1
	v_readlane_b32 s4, v80, 23
	v_mov_b32_e32 v4, 1
	v_readlane_b32 s5, v80, 24
	s_and_saveexec_b64 s[2:3], s[4:5]
	s_cbranch_execnz .LBB23_18
	s_branch .LBB23_21
.LBB23_17:                              ;   in Loop: Header=BB23_4 Depth=1
	s_or_b64 exec, exec, s[2:3]
	s_and_saveexec_b64 s[2:3], s[4:5]
	s_cbranch_execz .LBB23_21
.LBB23_18:                              ;   in Loop: Header=BB23_4 Depth=1
	v_mov_b32_e32 v5, s1
	v_add_co_u32_e32 v6, vcc, s0, v2
	v_addc_co_u32_e32 v7, vcc, v3, v5, vcc
	v_ashrrev_i32_e32 v5, 31, v4
	v_lshlrev_b64 v[2:3], 2, v[4:5]
	v_add_co_u32_e32 v2, vcc, v6, v2
	v_readlane_b32 s4, v80, 38
	v_addc_co_u32_e32 v3, vcc, v7, v3, vcc
	v_mov_b32_e32 v5, s4
	v_readlane_b32 s4, v80, 36
	v_add_co_u32_e32 v2, vcc, s4, v2
	v_readlane_b32 s4, v80, 20
	v_addc_co_u32_e32 v3, vcc, v5, v3, vcc
	v_sub_u32_e32 v4, s4, v4
	s_mov_b64 s[4:5], 0
.LBB23_19:                              ;   Parent Loop BB23_4 Depth=1
                                        ; =>  This Inner Loop Header: Depth=2
	global_load_dword v5, v[2:3], off
	v_add_co_u32_e32 v2, vcc, 4, v2
	v_addc_co_u32_e32 v3, vcc, 0, v3, vcc
	v_add_u32_e32 v4, -1, v4
	v_cmp_eq_u32_e32 vcc, 0, v4
	s_or_b64 s[4:5], vcc, s[4:5]
	s_waitcnt vmcnt(0)
	v_add_u32_e32 v8, v5, v8
	s_andn2_b64 exec, exec, s[4:5]
	s_cbranch_execnz .LBB23_19
; %bb.20:                               ;   in Loop: Header=BB23_4 Depth=1
	s_or_b64 exec, exec, s[4:5]
.LBB23_21:                              ;   in Loop: Header=BB23_4 Depth=1
	s_or_b64 exec, exec, s[2:3]
.LBB23_22:                              ;   in Loop: Header=BB23_4 Depth=1
	s_waitcnt vmcnt(0)
	v_add3_u32 v2, v1, v8, -1
	v_cmp_gt_u32_e32 vcc, s12, v0
	v_readlane_b32 s2, v80, 5
	v_cndmask_b32_e32 v2, v1, v2, vcc
	v_cndmask_b32_e64 v3, -8, 0, vcc
	v_mov_b32_e32 v4, s2
	v_readlane_b32 s2, v80, 4
	v_cndmask_b32_e64 v1, -1, 0, vcc
	v_add_co_u32_e32 v5, vcc, s2, v3
	v_ashrrev_i32_e32 v3, 31, v2
	v_addc_co_u32_e32 v1, vcc, v4, v1, vcc
	v_lshlrev_b64 v[2:3], 3, v[2:3]
	s_add_u32 s2, s10, s52
	v_add_co_u32_e32 v2, vcc, v5, v2
	s_addc_u32 s3, s11, s53
	v_addc_co_u32_e32 v3, vcc, v1, v3, vcc
	global_load_dword v1, v13, s[2:3] offset:8
	global_load_dwordx2 v[6:7], v[2:3], off
	v_readlane_b32 s4, v80, 18
	s_add_u32 s2, s2, 8
	v_readlane_b32 s5, v80, 19
	s_addc_u32 s3, s3, 0
	s_andn2_b64 vcc, exec, s[4:5]
	s_waitcnt vmcnt(1)
	v_readfirstlane_b32 s29, v1
	s_cbranch_vccnz .LBB23_30
; %bb.23:                               ;   in Loop: Header=BB23_4 Depth=1
	v_readlane_b32 s4, v80, 30
	v_readlane_b32 s5, v80, 31
	s_and_b64 vcc, exec, s[4:5]
	s_cbranch_vccz .LBB23_27
; %bb.24:                               ;   in Loop: Header=BB23_4 Depth=1
	s_add_u32 s4, s2, 4
	s_addc_u32 s5, s3, 0
	s_mov_b32 s2, 0
	s_mov_b32 s10, 0
.LBB23_25:                              ;   Parent Loop BB23_4 Depth=1
                                        ; =>  This Inner Loop Header: Depth=2
	s_ashr_i32 s3, s2, 31
	s_lshl_b64 s[12:13], s[2:3], 2
	s_add_u32 s12, s4, s12
	s_addc_u32 s13, s5, s13
	global_load_dwordx2 v[2:3], v13, s[12:13]
	s_add_i32 s2, s2, 2
	s_waitcnt vmcnt(0)
	v_readfirstlane_b32 s3, v3
	v_readfirstlane_b32 s11, v2
	s_add_i32 s10, s3, s10
	s_add_i32 s29, s11, s29
	s_cmp_lg_u32 s7, s2
	s_cbranch_scc1 .LBB23_25
; %bb.26:                               ;   in Loop: Header=BB23_4 Depth=1
	s_add_i32 s29, s29, s10
	v_readlane_b32 s2, v80, 32
	s_branch .LBB23_28
.LBB23_27:                              ;   in Loop: Header=BB23_4 Depth=1
	s_mov_b32 s2, 1
.LBB23_28:                              ;   in Loop: Header=BB23_4 Depth=1
	s_ashr_i32 s3, s2, 31
	s_lshl_b64 s[4:5], s[2:3], 2
	s_add_u32 s0, s0, s4
	s_addc_u32 s1, s1, s5
	v_readlane_b32 s3, v80, 37
	s_add_u32 s0, s3, s0
	v_readlane_b32 s3, v80, 39
	s_addc_u32 s1, s3, s1
	v_readlane_b32 s3, v80, 33
	s_sub_i32 s2, s3, s2
.LBB23_29:                              ;   Parent Loop BB23_4 Depth=1
                                        ; =>  This Inner Loop Header: Depth=2
	global_load_dword v1, v13, s[0:1]
	s_waitcnt vmcnt(0)
	v_readfirstlane_b32 s3, v1
	s_add_i32 s29, s3, s29
	s_add_u32 s0, s0, 4
	s_addc_u32 s1, s1, 0
	s_add_i32 s2, s2, -1
	s_cmp_eq_u32 s2, 0
	s_cbranch_scc0 .LBB23_29
.LBB23_30:                              ;   in Loop: Header=BB23_4 Depth=1
	s_and_b32 s35, s6, 0xffff
	s_add_u32 s0, s8, s52
	s_addc_u32 s1, s9, s53
	global_load_dword v1, v13, s[0:1] offset:8
	v_readlane_b32 s0, v80, 8
	s_mov_b32 s60, 0
	s_waitcnt vmcnt(0)
	v_readfirstlane_b32 s8, v1
	s_ashr_i32 s9, s8, 31
	s_lshl_b64 s[62:63], s[8:9], 2
	s_add_u32 s0, s0, s62
	v_writelane_b32 v80, s0, 53
	v_readlane_b32 s0, v80, 10
	s_addc_u32 s0, s0, s63
	s_cmp_gt_i32 s29, 0
	s_cselect_b64 s[58:59], -1, 0
	s_cmp_lt_i32 s29, 1
	v_writelane_b32 v80, s0, 54
	s_cbranch_scc1 .LBB23_38
; %bb.31:                               ;   in Loop: Header=BB23_4 Depth=1
	s_cmp_lg_u32 s29, 1
	s_cbranch_scc0 .LBB23_35
; %bb.32:                               ;   in Loop: Header=BB23_4 Depth=1
	s_and_b32 s20, s29, 0x7ffffffe
	v_readlane_b32 s0, v80, 53
	s_add_u32 s0, s0, 8
	v_readlane_b32 s1, v80, 54
	s_addc_u32 s1, s1, 0
	s_mov_b32 s2, 0
	s_mov_b32 s3, s20
	;; [unrolled: 1-line block ×3, first 2 shown]
.LBB23_33:                              ;   Parent Loop BB23_4 Depth=1
                                        ; =>  This Inner Loop Header: Depth=2
	s_nop 0
	global_load_dwordx2 v[2:3], v13, s[0:1]
	s_waitcnt vmcnt(0)
	v_readfirstlane_b32 s6, v2
	v_readfirstlane_b32 s5, v3
	s_cmp_eq_u32 s6, 1
	s_cselect_b64 s[10:11], -1, 0
	s_cmp_eq_u32 s5, 1
	s_cselect_b64 s[12:13], -1, 0
	s_cmp_lg_u64 s[12:13], 0
	s_addc_u32 s4, s4, 0
	s_cmp_lg_u64 s[10:11], 0
	s_addc_u32 s2, s2, 0
	s_add_u32 s0, s0, 8
	s_addc_u32 s1, s1, 0
	s_add_i32 s3, s3, -2
	s_cmp_lg_u32 s3, 0
	s_cbranch_scc1 .LBB23_33
; %bb.34:                               ;   in Loop: Header=BB23_4 Depth=1
	s_add_i32 s60, s2, s4
	s_cmp_lg_u32 s29, s20
	s_cselect_b64 s[0:1], -1, 0
	s_and_b64 vcc, exec, s[0:1]
	s_cbranch_vccnz .LBB23_36
	s_branch .LBB23_38
.LBB23_35:                              ;   in Loop: Header=BB23_4 Depth=1
	s_mov_b32 s20, 0
	s_cbranch_execz .LBB23_38
.LBB23_36:                              ;   in Loop: Header=BB23_4 Depth=1
	s_sub_i32 s2, s29, s20
	s_lshl_b64 s[0:1], s[20:21], 2
	s_add_u32 s0, s62, s0
	s_addc_u32 s1, s63, s1
	v_readlane_b32 s3, v80, 40
	s_add_u32 s0, s3, s0
	v_readlane_b32 s3, v80, 41
	s_addc_u32 s1, s3, s1
.LBB23_37:                              ;   Parent Loop BB23_4 Depth=1
                                        ; =>  This Inner Loop Header: Depth=2
	global_load_dword v1, v13, s[0:1]
	s_waitcnt vmcnt(0)
	v_readfirstlane_b32 s3, v1
	s_cmp_eq_u32 s3, 1
	s_cselect_b64 s[4:5], -1, 0
	s_cmp_lg_u64 s[4:5], 0
	s_addc_u32 s60, s60, 0
	s_add_i32 s2, s2, -1
	s_add_u32 s0, s0, 4
	s_addc_u32 s1, s1, 0
	s_cmp_eq_u32 s2, 0
	s_cbranch_scc0 .LBB23_37
.LBB23_38:                              ;   in Loop: Header=BB23_4 Depth=1
	s_mul_i32 s0, s8, s34
	s_ashr_i32 s1, s0, 31
	s_cmp_lt_i32 s60, 1
	s_cselect_b64 s[64:65], -1, 0
	s_and_b64 vcc, exec, s[64:65]
	s_cbranch_vccnz .LBB23_46
; %bb.39:                               ;   in Loop: Header=BB23_4 Depth=1
	s_add_i32 s6, s60, -1
	s_lshl_b32 s16, s35, 1
	v_readlane_b32 s2, v80, 42
	s_add_u32 s17, s2, s62
	v_readlane_b32 s2, v80, 43
	s_addc_u32 s20, s2, s63
	s_lshl_b32 s22, s35, 3
	s_lshl_b64 s[2:3], s[8:9], 3
	v_readlane_b32 s4, v80, 45
	s_add_u32 s23, s4, s2
	v_readlane_b32 s2, v80, 47
	s_addc_u32 s30, s2, s3
	s_lshl_b32 s31, s35, 4
	s_lshl_b64 s[2:3], s[0:1], 3
	v_readlane_b32 s4, v80, 12
	s_add_u32 s33, s4, s2
	v_readlane_b32 s2, v80, 13
	s_addc_u32 s36, s2, s3
	s_mov_b32 s37, 0
	s_mov_b64 s[2:3], 0
	s_branch .LBB23_41
.LBB23_40:                              ;   in Loop: Header=BB23_41 Depth=2
	s_or_b64 exec, exec, s[4:5]
	s_add_i32 s37, s37, 1
	s_not_b64 s[2:3], s[2:3]
	s_cmp_eq_u32 s37, s60
	s_barrier
	s_cbranch_scc1 .LBB23_46
.LBB23_41:                              ;   Parent Loop BB23_4 Depth=1
                                        ; =>  This Loop Header: Depth=2
                                        ;       Child Loop BB23_44 Depth 3
	v_and_or_b32 v1, s37, 1, v11
	v_cmp_gt_i32_e32 vcc, s6, v1
	s_and_saveexec_b64 s[4:5], vcc
	s_cbranch_execz .LBB23_40
; %bb.42:                               ;   in Loop: Header=BB23_41 Depth=2
	v_cndmask_b32_e64 v2, 0, 1, s[2:3]
	v_add_u32_e32 v2, v11, v2
	v_lshlrev_b32_e32 v3, 2, v2
	v_mov_b32_e32 v4, s20
	v_add_co_u32_e32 v8, vcc, s17, v3
	v_addc_co_u32_e32 v9, vcc, 0, v4, vcc
	v_lshlrev_b32_e32 v2, 3, v2
	v_mov_b32_e32 v3, s30
	v_add_co_u32_e32 v12, vcc, s23, v2
	v_addc_co_u32_e32 v16, vcc, 0, v3, vcc
	v_mov_b32_e32 v3, s36
	v_add_co_u32_e32 v17, vcc, s33, v2
	v_addc_co_u32_e32 v18, vcc, 0, v3, vcc
	s_mov_b64 s[10:11], 0
	s_mov_b64 s[12:13], 0
	s_branch .LBB23_44
.LBB23_43:                              ;   in Loop: Header=BB23_44 Depth=3
	s_or_b64 exec, exec, s[14:15]
	v_add_u32_e32 v1, s16, v1
	s_add_u32 s12, s12, s31
	s_addc_u32 s13, s13, 0
	v_cmp_le_i32_e32 vcc, s6, v1
	v_mov_b32_e32 v2, s21
	s_or_b64 s[10:11], vcc, s[10:11]
	v_add_co_u32_e32 v8, vcc, s22, v8
	v_addc_co_u32_e32 v9, vcc, v9, v2, vcc
	s_andn2_b64 exec, exec, s[10:11]
	s_cbranch_execz .LBB23_40
.LBB23_44:                              ;   Parent Loop BB23_4 Depth=1
                                        ;     Parent Loop BB23_41 Depth=2
                                        ; =>    This Inner Loop Header: Depth=3
	v_mov_b32_e32 v2, s13
	v_add_co_u32_e32 v14, vcc, s12, v17
	v_addc_co_u32_e32 v15, vcc, v18, v2, vcc
	global_load_dwordx4 v[2:5], v[14:15], off
	s_waitcnt vmcnt(0)
	v_cmp_gt_f64_e32 vcc, v[2:3], v[4:5]
	s_and_saveexec_b64 s[14:15], vcc
	s_cbranch_execz .LBB23_43
; %bb.45:                               ;   in Loop: Header=BB23_44 Depth=3
	v_mov_b32_e32 v20, v4
	v_mov_b32_e32 v21, v5
	;; [unrolled: 1-line block ×5, first 2 shown]
	v_add_co_u32_e32 v24, vcc, s12, v12
	global_store_dwordx4 v[14:15], v[20:23], off
	v_addc_co_u32_e32 v25, vcc, v16, v2, vcc
	global_load_dwordx4 v[2:5], v[24:25], off offset:-8
	global_load_dwordx2 v[14:15], v[8:9], off
	s_waitcnt vmcnt(1)
	v_mov_b32_e32 v20, v4
	v_mov_b32_e32 v21, v5
	;; [unrolled: 1-line block ×4, first 2 shown]
	s_waitcnt vmcnt(0)
	v_mov_b32_e32 v26, v15
	v_mov_b32_e32 v27, v14
	global_store_dwordx4 v[24:25], v[20:23], off offset:-8
	global_store_dwordx2 v[8:9], v[26:27], off
	s_branch .LBB23_43
.LBB23_46:                              ;   in Loop: Header=BB23_4 Depth=1
	s_lshl_b64 s[10:11], s[0:1], 3
	v_readlane_b32 s0, v80, 12
	s_add_u32 s20, s0, s10
	v_readlane_b32 s0, v80, 13
	s_addc_u32 s40, s0, s11
	v_cmp_gt_i32_e64 s[0:1], s60, v0
	s_and_saveexec_b64 s[4:5], s[0:1]
	s_cbranch_execz .LBB23_53
; %bb.47:                               ;   in Loop: Header=BB23_4 Depth=1
	s_mul_i32 s6, s29, s34
	s_cmp_gt_i32 s6, s34
	v_readlane_b32 s2, v80, 12
	s_cselect_b64 s[12:13], -1, 0
	s_add_u32 s22, s2, s10
	v_readlane_b32 s2, v80, 13
	s_addc_u32 s23, s2, s11
	s_mov_b64 s[14:15], 0
	v_mov_b32_e32 v2, v65
	v_mov_b32_e32 v12, v0
	s_branch .LBB23_49
.LBB23_48:                              ;   in Loop: Header=BB23_49 Depth=2
	v_add_u32_e32 v12, s35, v12
	v_cmp_le_i32_e32 vcc, s60, v12
	s_or_b64 s[14:15], vcc, s[14:15]
	v_add_u32_e32 v2, s35, v2
	s_andn2_b64 exec, exec, s[14:15]
	s_cbranch_execz .LBB23_53
.LBB23_49:                              ;   Parent Loop BB23_4 Depth=1
                                        ; =>  This Loop Header: Depth=2
                                        ;       Child Loop BB23_51 Depth 3
	s_andn2_b64 vcc, exec, s[12:13]
	s_cbranch_vccnz .LBB23_48
; %bb.50:                               ;   in Loop: Header=BB23_49 Depth=2
	v_lshlrev_b64 v[4:5], 3, v[12:13]
	v_mov_b32_e32 v1, s40
	v_add_co_u32_e32 v4, vcc, s20, v4
	v_addc_co_u32_e32 v5, vcc, v1, v5, vcc
	global_load_dwordx2 v[4:5], v[4:5], off
	v_ashrrev_i32_e32 v3, 31, v2
	v_lshlrev_b64 v[8:9], 3, v[2:3]
	v_mov_b32_e32 v1, s23
	v_add_co_u32_e32 v8, vcc, s22, v8
	v_addc_co_u32_e32 v9, vcc, v1, v9, vcc
	v_add_u32_e32 v1, s6, v12
	v_add_u32_e32 v3, s34, v12
	s_mov_b64 s[16:17], 0
	s_waitcnt vmcnt(0)
.LBB23_51:                              ;   Parent Loop BB23_4 Depth=1
                                        ;     Parent Loop BB23_49 Depth=2
                                        ; =>    This Inner Loop Header: Depth=3
	v_add_u32_e32 v3, s34, v3
	global_store_dwordx2 v[8:9], v[4:5], off
	v_mov_b32_e32 v14, s19
	v_add_co_u32_e32 v8, vcc, s18, v8
	v_cmp_ge_i32_e64 s[2:3], v3, v1
	s_or_b64 s[16:17], s[2:3], s[16:17]
	v_addc_co_u32_e32 v9, vcc, v9, v14, vcc
	s_andn2_b64 exec, exec, s[16:17]
	s_cbranch_execnz .LBB23_51
; %bb.52:                               ;   in Loop: Header=BB23_49 Depth=2
	s_or_b64 exec, exec, s[16:17]
	s_branch .LBB23_48
.LBB23_53:                              ;   in Loop: Header=BB23_4 Depth=1
	s_or_b64 exec, exec, s[4:5]
	v_cmp_gt_i32_e32 vcc, s29, v0
	s_and_saveexec_b64 s[12:13], vcc
	s_cbranch_execz .LBB23_56
; %bb.54:                               ;   in Loop: Header=BB23_4 Depth=1
	s_lshl_b64 s[2:3], s[8:9], 3
	v_mov_b32_e32 v1, s3
	v_add_co_u32_e64 v2, s[2:3], s2, v10
	v_addc_co_u32_e64 v1, s[2:3], 0, v1, s[2:3]
	s_lshl_b32 s6, s35, 3
	s_mov_b64 s[14:15], 0
	v_mov_b32_e32 v3, v0
.LBB23_55:                              ;   Parent Loop BB23_4 Depth=1
                                        ; =>  This Inner Loop Header: Depth=2
	v_mov_b32_e32 v5, s42
	v_add_co_u32_e64 v4, s[2:3], s41, v2
	v_addc_co_u32_e64 v5, s[2:3], v5, v1, s[2:3]
	global_load_dwordx2 v[4:5], v[4:5], off
	v_mov_b32_e32 v9, s43
	v_mov_b32_e32 v12, s21
	v_add_co_u32_e64 v8, s[2:3], s39, v2
	v_add_co_u32_e64 v2, s[4:5], s6, v2
	v_add_u32_e32 v3, s35, v3
	v_addc_co_u32_e64 v9, s[2:3], v9, v1, s[2:3]
	v_addc_co_u32_e64 v1, s[2:3], v1, v12, s[4:5]
	v_cmp_le_i32_e64 s[2:3], s29, v3
	s_or_b64 s[14:15], s[2:3], s[14:15]
	s_waitcnt vmcnt(0)
	global_store_dwordx2 v[8:9], v[4:5], off
	s_andn2_b64 exec, exec, s[14:15]
	s_cbranch_execnz .LBB23_55
.LBB23_56:                              ;   in Loop: Header=BB23_4 Depth=1
	s_or_b64 exec, exec, s[12:13]
	s_lshl_b64 s[68:69], s[8:9], 3
	v_readlane_b32 s2, v80, 44
	s_add_u32 s30, s2, s68
	v_readlane_b32 s2, v80, 46
	s_addc_u32 s31, s2, s69
	s_barrier
	s_and_saveexec_b64 s[70:71], vcc
	s_cbranch_execz .LBB23_252
; %bb.57:                               ;   in Loop: Header=BB23_4 Depth=1
	v_add_f64 v[2:3], v[6:7], v[6:7]
	v_xor_b32_e32 v1, 0x80000000, v3
	v_cmp_gt_f64_e64 s[2:3], 0, v[2:3]
	v_cndmask_b32_e64 v15, v3, v1, s[2:3]
	v_cndmask_b32_e64 v14, v2, v2, s[2:3]
	v_div_scale_f64 v[2:3], s[4:5], v[14:15], v[14:15], 1.0
	s_add_u32 s36, s39, s68
	s_addc_u32 s37, s43, s69
	s_add_i32 s72, s60, -1
	s_add_i32 s4, s60, -2
	s_cmp_gt_i32 s60, 2
	s_cselect_b64 s[74:75], -1, 0
	s_ashr_i32 s61, s60, 31
	s_lshl_b64 s[76:77], s[60:61], 3
	s_add_u32 s78, s30, s76
	v_rcp_f64_e32 v[4:5], v[2:3]
	v_writelane_b32 v80, s4, 55
	s_addc_u32 s79, s31, s77
	s_cmp_gt_i32 s60, 1
	v_readlane_b32 s4, v80, 53
	s_cselect_b64 s[80:81], -1, 0
	s_add_u32 s61, s4, 8
	v_readlane_b32 s4, v80, 54
	s_addc_u32 s33, s4, 0
	s_ashr_i32 s73, s72, 31
	v_fma_f64 v[6:7], -v[2:3], v[4:5], 1.0
	s_lshl_b64 s[4:5], s[72:73], 3
	v_fmac_f64_e32 v[4:5], v[4:5], v[6:7]
	s_add_u32 s6, s10, s4
	v_fma_f64 v[6:7], -v[2:3], v[4:5], 1.0
	s_addc_u32 s8, s11, s5
	v_readlane_b32 s9, v80, 12
	v_fmac_f64_e32 v[4:5], v[4:5], v[6:7]
	v_div_scale_f64 v[6:7], vcc, 1.0, v[14:15], 1.0
	s_add_u32 s73, s9, s6
	v_readlane_b32 s6, v80, 13
	v_mul_f64 v[8:9], v[6:7], v[4:5]
	s_addc_u32 s22, s6, s8
	v_fma_f64 v[2:3], -v[2:3], v[8:9], v[6:7]
	s_add_u32 s4, s68, s4
	v_div_fmas_f64 v[2:3], v[2:3], v[4:5], v[8:9]
	s_addc_u32 s5, s69, s5
	v_readlane_b32 s6, v80, 44
	v_div_fixup_f64 v[16:17], v[2:3], v[14:15], 1.0
	s_add_u32 s82, s6, s4
	v_readlane_b32 s4, v80, 46
	v_add_f64 v[18:19], v[16:17], v[16:17]
	v_mul_f64 v[20:21], v[14:15], 0.5
	s_addc_u32 s83, s4, s5
	s_mov_b64 s[84:85], 0
	v_mov_b32_e32 v12, v0
	s_branch .LBB23_59
.LBB23_58:                              ;   in Loop: Header=BB23_59 Depth=2
	s_or_b64 exec, exec, s[86:87]
	v_add_u32_e32 v12, s35, v12
	v_cmp_le_i32_e32 vcc, s29, v12
	s_or_b64 s[84:85], vcc, s[84:85]
	s_andn2_b64 exec, exec, s[84:85]
	s_cbranch_execz .LBB23_252
.LBB23_59:                              ;   Parent Loop BB23_4 Depth=1
                                        ; =>  This Loop Header: Depth=2
                                        ;       Child Loop BB23_65 Depth 3
                                        ;       Child Loop BB23_72 Depth 3
	;; [unrolled: 1-line block ×10, first 2 shown]
                                        ;         Child Loop BB23_176 Depth 4
                                        ;         Child Loop BB23_180 Depth 4
                                        ;       Child Loop BB23_186 Depth 3
                                        ;       Child Loop BB23_202 Depth 3
	;; [unrolled: 1-line block ×5, first 2 shown]
                                        ;         Child Loop BB23_246 Depth 4
	v_lshlrev_b64 v[2:3], 2, v[12:13]
	v_mov_b32_e32 v1, s33
	v_add_co_u32_e32 v2, vcc, s61, v2
	v_addc_co_u32_e32 v3, vcc, v1, v3, vcc
	global_load_dword v1, v[2:3], off
	s_waitcnt vmcnt(0)
	v_cmp_eq_u32_e32 vcc, 1, v1
	s_and_saveexec_b64 s[86:87], vcc
	s_cbranch_execz .LBB23_58
; %bb.60:                               ;   in Loop: Header=BB23_59 Depth=2
	s_andn2_b64 vcc, exec, s[64:65]
	v_mul_lo_u32 v1, v12, s34
	s_cbranch_vccnz .LBB23_62
; %bb.61:                               ;   in Loop: Header=BB23_59 Depth=2
	v_mul_lo_u32 v44, v12, s34
	s_mov_b64 s[4:5], 0
	s_mov_b32 s6, 0
	s_branch .LBB23_63
.LBB23_62:                              ;   in Loop: Header=BB23_59 Depth=2
	s_mov_b64 s[4:5], -1
                                        ; implicit-def: $sgpr6
                                        ; implicit-def: $vgpr44
.LBB23_63:                              ;   in Loop: Header=BB23_59 Depth=2
	v_lshlrev_b64 v[2:3], 3, v[12:13]
	v_mov_b32_e32 v4, s37
	v_add_co_u32_e32 v22, vcc, s36, v2
	v_addc_co_u32_e32 v23, vcc, v4, v3, vcc
	s_andn2_b64 vcc, exec, s[4:5]
	v_mov_b32_e32 v8, s6
	s_cbranch_vccnz .LBB23_67
; %bb.64:                               ;   in Loop: Header=BB23_59 Depth=2
	global_load_dwordx2 v[2:3], v[22:23], off
	s_mov_b64 s[8:9], 0
	v_mov_b32_e32 v8, 0
	s_waitcnt vmcnt(0)
	v_xor_b32_e32 v4, 0x80000000, v3
	v_cndmask_b32_e64 v2, v2, v2, s[2:3]
	v_cndmask_b32_e64 v3, v3, v4, s[2:3]
	v_mov_b32_e32 v4, s60
.LBB23_65:                              ;   Parent Loop BB23_4 Depth=1
                                        ;     Parent Loop BB23_59 Depth=2
                                        ; =>    This Inner Loop Header: Depth=3
	v_lshrrev_b32_e32 v5, 1, v4
	v_add_u32_e32 v24, v8, v5
	v_add_u32_e32 v6, v24, v1
	v_ashrrev_i32_e32 v7, 31, v6
	v_lshlrev_b64 v[6:7], 3, v[6:7]
	v_mov_b32_e32 v9, s40
	v_add_co_u32_e32 v6, vcc, s20, v6
	v_addc_co_u32_e32 v7, vcc, v9, v7, vcc
	global_load_dwordx2 v[6:7], v[6:7], off
	v_xad_u32 v4, v5, -1, v4
	v_add_u32_e32 v9, 1, v24
	s_waitcnt vmcnt(0)
	v_cmp_lt_f64_e32 vcc, v[6:7], v[2:3]
	v_cndmask_b32_e32 v4, v5, v4, vcc
	v_cmp_gt_i32_e64 s[4:5], 1, v4
	s_or_b64 s[8:9], s[4:5], s[8:9]
	v_cndmask_b32_e32 v8, v8, v9, vcc
	s_andn2_b64 exec, exec, s[8:9]
	s_cbranch_execnz .LBB23_65
; %bb.66:                               ;   in Loop: Header=BB23_59 Depth=2
	s_or_b64 exec, exec, s[8:9]
	v_mov_b32_e32 v44, v1
.LBB23_67:                              ;   in Loop: Header=BB23_59 Depth=2
	v_ashrrev_i32_e32 v45, 31, v44
	v_lshlrev_b64 v[42:43], 3, v[44:45]
	v_mov_b32_e32 v1, s40
	v_add_co_u32_e64 v24, s[4:5], s20, v42
	v_cmp_ne_u32_e32 vcc, s72, v8
	v_addc_co_u32_e64 v25, s[4:5], v1, v43, s[4:5]
                                        ; implicit-def: $vgpr6_vgpr7
	s_and_saveexec_b64 s[4:5], vcc
	s_xor_b64 s[88:89], exec, s[4:5]
	s_cbranch_execnz .LBB23_70
; %bb.68:                               ;   in Loop: Header=BB23_59 Depth=2
	s_andn2_saveexec_b64 s[12:13], s[88:89]
	s_cbranch_execnz .LBB23_184
.LBB23_69:                              ;   in Loop: Header=BB23_59 Depth=2
	s_or_b64 exec, exec, s[12:13]
	global_store_dwordx2 v[22:23], v[6:7], off
	s_and_b64 exec, exec, s[2:3]
	s_cbranch_execz .LBB23_58
	s_branch .LBB23_251
.LBB23_70:                              ;   in Loop: Header=BB23_59 Depth=2
	v_mov_b32_e32 v9, v13
	v_lshlrev_b64 v[6:7], 3, v[8:9]
	v_add_co_u32_e32 v26, vcc, v24, v6
	v_addc_co_u32_e32 v27, vcc, v25, v7, vcc
	global_load_dwordx4 v[2:5], v[26:27], off
	v_cmp_lt_i32_e32 vcc, 0, v8
	v_pk_mov_b32 v[34:35], 0, 0
	s_waitcnt vmcnt(0)
	v_add_f64 v[28:29], v[2:3], v[4:5]
	v_mul_f64 v[28:29], v[28:29], 0.5
	s_and_saveexec_b64 s[4:5], vcc
	s_cbranch_execz .LBB23_74
; %bb.71:                               ;   in Loop: Header=BB23_59 Depth=2
	s_mov_b64 s[8:9], 0
	v_pk_mov_b32 v[34:35], 0, 0
	s_mov_b64 s[10:11], s[30:31]
	v_pk_mov_b32 v[30:31], v[24:25], v[24:25] op_sel:[0,1]
	v_mov_b32_e32 v1, v8
.LBB23_72:                              ;   Parent Loop BB23_4 Depth=1
                                        ;     Parent Loop BB23_59 Depth=2
                                        ; =>    This Inner Loop Header: Depth=3
	global_load_dwordx2 v[32:33], v[30:31], off
	global_load_dwordx2 v[36:37], v13, s[10:11]
	v_add_co_u32_e32 v30, vcc, 8, v30
	v_add_u32_e32 v1, -1, v1
	s_add_u32 s10, s10, 8
	v_addc_co_u32_e32 v31, vcc, 0, v31, vcc
	s_addc_u32 s11, s11, 0
	v_cmp_eq_u32_e32 vcc, 0, v1
	s_or_b64 s[8:9], vcc, s[8:9]
	s_waitcnt vmcnt(1)
	v_add_f64 v[32:33], v[32:33], -v[28:29]
	s_waitcnt vmcnt(0)
	v_div_scale_f64 v[38:39], s[12:13], v[32:33], v[32:33], v[36:37]
	v_rcp_f64_e32 v[40:41], v[38:39]
	v_div_scale_f64 v[46:47], vcc, v[36:37], v[32:33], v[36:37]
	v_fma_f64 v[48:49], -v[38:39], v[40:41], 1.0
	v_fmac_f64_e32 v[40:41], v[40:41], v[48:49]
	v_fma_f64 v[48:49], -v[38:39], v[40:41], 1.0
	v_fmac_f64_e32 v[40:41], v[40:41], v[48:49]
	v_mul_f64 v[48:49], v[46:47], v[40:41]
	v_fma_f64 v[38:39], -v[38:39], v[48:49], v[46:47]
	v_div_fmas_f64 v[38:39], v[38:39], v[40:41], v[48:49]
	v_div_fixup_f64 v[32:33], v[38:39], v[32:33], v[36:37]
	v_fmac_f64_e32 v[34:35], v[36:37], v[32:33]
	s_andn2_b64 exec, exec, s[8:9]
	s_cbranch_execnz .LBB23_72
; %bb.73:                               ;   in Loop: Header=BB23_59 Depth=2
	s_or_b64 exec, exec, s[8:9]
.LBB23_74:                              ;   in Loop: Header=BB23_59 Depth=2
	s_or_b64 exec, exec, s[4:5]
	v_add_u32_e32 v30, 1, v8
	v_cmp_gt_i32_e32 vcc, s72, v30
	v_pk_mov_b32 v[36:37], 0, 0
	s_and_saveexec_b64 s[4:5], vcc
	s_cbranch_execz .LBB23_78
; %bb.75:                               ;   in Loop: Header=BB23_59 Depth=2
	v_lshlrev_b64 v[32:33], 3, v[44:45]
	v_mov_b32_e32 v1, s22
	v_add_co_u32_e32 v32, vcc, s73, v32
	v_addc_co_u32_e32 v33, vcc, v1, v33, vcc
	s_mov_b64 s[8:9], 0
	v_pk_mov_b32 v[36:37], 0, 0
	s_mov_b64 s[10:11], s[82:83]
	s_mov_b32 s6, s72
.LBB23_76:                              ;   Parent Loop BB23_4 Depth=1
                                        ;     Parent Loop BB23_59 Depth=2
                                        ; =>    This Inner Loop Header: Depth=3
	global_load_dwordx2 v[38:39], v[32:33], off
	global_load_dwordx2 v[40:41], v13, s[10:11]
	s_add_i32 s6, s6, -1
	v_add_co_u32_e32 v32, vcc, -8, v32
	v_addc_co_u32_e32 v33, vcc, -1, v33, vcc
	s_add_u32 s10, s10, -8
	v_cmp_le_i32_e32 vcc, s6, v30
	s_addc_u32 s11, s11, -1
	s_or_b64 s[8:9], vcc, s[8:9]
	s_waitcnt vmcnt(1)
	v_add_f64 v[38:39], v[38:39], -v[28:29]
	s_waitcnt vmcnt(0)
	v_div_scale_f64 v[46:47], s[12:13], v[38:39], v[38:39], v[40:41]
	v_rcp_f64_e32 v[48:49], v[46:47]
	v_div_scale_f64 v[50:51], vcc, v[40:41], v[38:39], v[40:41]
	v_fma_f64 v[52:53], -v[46:47], v[48:49], 1.0
	v_fmac_f64_e32 v[48:49], v[48:49], v[52:53]
	v_fma_f64 v[52:53], -v[46:47], v[48:49], 1.0
	v_fmac_f64_e32 v[48:49], v[48:49], v[52:53]
	v_mul_f64 v[52:53], v[50:51], v[48:49]
	v_fma_f64 v[46:47], -v[46:47], v[52:53], v[50:51]
	v_div_fmas_f64 v[46:47], v[46:47], v[48:49], v[52:53]
	v_div_fixup_f64 v[38:39], v[46:47], v[38:39], v[40:41]
	v_fmac_f64_e32 v[36:37], v[40:41], v[38:39]
	s_andn2_b64 exec, exec, s[8:9]
	s_cbranch_execnz .LBB23_76
; %bb.77:                               ;   in Loop: Header=BB23_59 Depth=2
	s_or_b64 exec, exec, s[8:9]
.LBB23_78:                              ;   in Loop: Header=BB23_59 Depth=2
	s_or_b64 exec, exec, s[4:5]
	v_mov_b32_e32 v1, s31
	v_add_co_u32_e32 v28, vcc, s30, v6
	v_addc_co_u32_e32 v29, vcc, v1, v7, vcc
	global_load_dwordx4 v[38:41], v[28:29], off
	v_add_f64 v[6:7], v[16:17], v[34:35]
	v_add_f64 v[36:37], v[6:7], v[36:37]
	v_add_f64 v[32:33], v[4:5], -v[2:3]
	v_mul_f64 v[52:53], v[32:33], v[36:37]
                                        ; implicit-def: $sgpr10_sgpr11
	s_waitcnt vmcnt(0)
	v_mul_f64 v[38:39], v[38:39], v[38:39]
	v_fma_f64 v[6:7], v[40:41], v[40:41], -v[38:39]
	v_add_f64 v[6:7], v[6:7], v[6:7]
	v_div_scale_f64 v[34:35], s[4:5], v[32:33], v[32:33], v[6:7]
	v_rcp_f64_e32 v[46:47], v[34:35]
	v_div_scale_f64 v[48:49], vcc, v[6:7], v[32:33], v[6:7]
	v_mul_f64 v[40:41], v[40:41], v[40:41]
	v_fma_f64 v[50:51], -v[34:35], v[46:47], 1.0
	v_fmac_f64_e32 v[46:47], v[46:47], v[50:51]
	v_fma_f64 v[50:51], -v[34:35], v[46:47], 1.0
	v_fmac_f64_e32 v[46:47], v[46:47], v[50:51]
	v_mul_f64 v[50:51], v[48:49], v[46:47]
	v_fma_f64 v[34:35], -v[34:35], v[50:51], v[48:49]
	v_div_fmas_f64 v[34:35], v[34:35], v[46:47], v[50:51]
	v_div_fixup_f64 v[6:7], v[34:35], v[32:33], v[6:7]
	v_add_f64 v[6:7], v[36:37], v[6:7]
	v_cmp_lt_f64_e64 s[4:5], 0, v[6:7]
	v_cmp_nlt_f64_e64 s[14:15], 0, v[6:7]
                                        ; implicit-def: $vgpr6_vgpr7
                                        ; implicit-def: $vgpr46_vgpr47
                                        ; implicit-def: $vgpr48_vgpr49
	s_and_saveexec_b64 s[8:9], s[14:15]
	s_xor_b64 s[8:9], exec, s[8:9]
	s_cbranch_execz .LBB23_84
; %bb.79:                               ;   in Loop: Header=BB23_59 Depth=2
	v_mul_f64 v[8:9], v[32:33], v[40:41]
	v_add_f64 v[6:7], v[52:53], -v[38:39]
	v_mul_f64 v[34:35], v[8:9], 4.0
	v_add_f64 v[6:7], v[6:7], -v[40:41]
	v_mul_f64 v[34:35], v[36:37], v[34:35]
	v_fmac_f64_e32 v[34:35], v[6:7], v[6:7]
	v_cmp_lt_f64_e64 vcc, |v[34:35]|, s[24:25]
	v_cndmask_b32_e64 v1, 0, 1, vcc
	v_lshlrev_b32_e32 v1, 8, v1
	v_ldexp_f64 v[34:35], |v[34:35]|, v1
	v_rsq_f64_e32 v[38:39], v[34:35]
	v_cndmask_b32_e32 v1, 0, v67, vcc
	v_cmp_class_f64_e32 vcc, v[34:35], v66
	v_mul_f64 v[40:41], v[34:35], v[38:39]
	v_mul_f64 v[38:39], v[38:39], 0.5
	v_fma_f64 v[46:47], -v[38:39], v[40:41], 0.5
	v_fmac_f64_e32 v[40:41], v[40:41], v[46:47]
	v_fma_f64 v[48:49], -v[40:41], v[40:41], v[34:35]
	v_fmac_f64_e32 v[38:39], v[38:39], v[46:47]
	v_fmac_f64_e32 v[40:41], v[48:49], v[38:39]
	v_fma_f64 v[46:47], -v[40:41], v[40:41], v[34:35]
	v_fmac_f64_e32 v[40:41], v[46:47], v[38:39]
	v_ldexp_f64 v[38:39], v[40:41], v1
	v_cndmask_b32_e32 v35, v39, v35, vcc
	v_cndmask_b32_e32 v34, v38, v34, vcc
	v_cmp_ngt_f64_e32 vcc, 0, v[6:7]
                                        ; implicit-def: $vgpr46_vgpr47
	s_and_saveexec_b64 s[10:11], vcc
	s_xor_b64 s[10:11], exec, s[10:11]
	s_cbranch_execz .LBB23_81
; %bb.80:                               ;   in Loop: Header=BB23_59 Depth=2
	v_add_f64 v[6:7], v[6:7], v[34:35]
	v_add_f64 v[8:9], v[36:37], v[36:37]
	v_div_scale_f64 v[34:35], s[12:13], v[8:9], v[8:9], -v[6:7]
	v_rcp_f64_e32 v[36:37], v[34:35]
	v_fma_f64 v[38:39], -v[34:35], v[36:37], 1.0
	v_fmac_f64_e32 v[36:37], v[36:37], v[38:39]
	v_fma_f64 v[38:39], -v[34:35], v[36:37], 1.0
	v_fmac_f64_e32 v[36:37], v[36:37], v[38:39]
	v_div_scale_f64 v[38:39], vcc, -v[6:7], v[8:9], -v[6:7]
	v_mul_f64 v[40:41], v[38:39], v[36:37]
	v_fma_f64 v[34:35], -v[34:35], v[40:41], v[38:39]
	s_nop 1
	v_div_fmas_f64 v[34:35], v[34:35], v[36:37], v[40:41]
	v_div_fixup_f64 v[46:47], v[34:35], v[8:9], -v[6:7]
                                        ; implicit-def: $vgpr8_vgpr9
                                        ; implicit-def: $vgpr6_vgpr7
                                        ; implicit-def: $vgpr34_vgpr35
.LBB23_81:                              ;   in Loop: Header=BB23_59 Depth=2
	s_andn2_saveexec_b64 s[10:11], s[10:11]
	s_cbranch_execz .LBB23_83
; %bb.82:                               ;   in Loop: Header=BB23_59 Depth=2
	v_add_f64 v[8:9], v[8:9], v[8:9]
	v_add_f64 v[6:7], v[6:7], -v[34:35]
	v_div_scale_f64 v[34:35], s[12:13], v[6:7], v[6:7], v[8:9]
	v_rcp_f64_e32 v[36:37], v[34:35]
	v_fma_f64 v[38:39], -v[34:35], v[36:37], 1.0
	v_fmac_f64_e32 v[36:37], v[36:37], v[38:39]
	v_fma_f64 v[38:39], -v[34:35], v[36:37], 1.0
	v_fmac_f64_e32 v[36:37], v[36:37], v[38:39]
	v_div_scale_f64 v[38:39], vcc, v[8:9], v[6:7], v[8:9]
	v_mul_f64 v[40:41], v[38:39], v[36:37]
	v_fma_f64 v[34:35], -v[34:35], v[40:41], v[38:39]
	s_nop 1
	v_div_fmas_f64 v[34:35], v[34:35], v[36:37], v[40:41]
	v_div_fixup_f64 v[46:47], v[34:35], v[6:7], v[8:9]
.LBB23_83:                              ;   in Loop: Header=BB23_59 Depth=2
	s_or_b64 exec, exec, s[10:11]
	v_mul_f64 v[48:49], v[32:33], -0.5
	v_add_f64 v[6:7], v[4:5], v[46:47]
	s_mov_b64 s[10:11], 0
                                        ; implicit-def: $vgpr52_vgpr53
                                        ; implicit-def: $vgpr38_vgpr39
                                        ; implicit-def: $vgpr40_vgpr41
                                        ; implicit-def: $vgpr36_vgpr37
                                        ; implicit-def: $vgpr8
.LBB23_84:                              ;   in Loop: Header=BB23_59 Depth=2
	s_or_saveexec_b64 s[8:9], s[8:9]
	v_pk_mov_b32 v[50:51], s[10:11], s[10:11] op_sel:[0,1]
	v_pk_mov_b32 v[34:35], v[4:5], v[4:5] op_sel:[0,1]
	s_xor_b64 exec, exec, s[8:9]
	s_cbranch_execz .LBB23_90
; %bb.85:                               ;   in Loop: Header=BB23_59 Depth=2
	v_mul_f64 v[30:31], v[32:33], v[38:39]
	v_add_f64 v[6:7], v[52:53], v[38:39]
	v_mul_f64 v[34:35], v[30:31], -4.0
	v_add_f64 v[6:7], v[6:7], v[40:41]
	v_mul_f64 v[34:35], v[36:37], v[34:35]
	v_fmac_f64_e32 v[34:35], v[6:7], v[6:7]
	v_cmp_lt_f64_e64 vcc, |v[34:35]|, s[24:25]
	v_cndmask_b32_e64 v1, 0, 1, vcc
	v_lshlrev_b32_e32 v1, 8, v1
	v_ldexp_f64 v[34:35], |v[34:35]|, v1
	v_rsq_f64_e32 v[38:39], v[34:35]
	v_cndmask_b32_e32 v1, 0, v67, vcc
	v_cmp_class_f64_e32 vcc, v[34:35], v66
	v_mul_f64 v[40:41], v[34:35], v[38:39]
	v_mul_f64 v[38:39], v[38:39], 0.5
	v_fma_f64 v[46:47], -v[38:39], v[40:41], 0.5
	v_fmac_f64_e32 v[40:41], v[40:41], v[46:47]
	v_fma_f64 v[48:49], -v[40:41], v[40:41], v[34:35]
	v_fmac_f64_e32 v[38:39], v[38:39], v[46:47]
	v_fmac_f64_e32 v[40:41], v[48:49], v[38:39]
	v_fma_f64 v[46:47], -v[40:41], v[40:41], v[34:35]
	v_fmac_f64_e32 v[40:41], v[46:47], v[38:39]
	v_ldexp_f64 v[38:39], v[40:41], v1
	v_cndmask_b32_e32 v35, v39, v35, vcc
	v_cndmask_b32_e32 v34, v38, v34, vcc
	v_cmp_nlt_f64_e32 vcc, 0, v[6:7]
                                        ; implicit-def: $vgpr46_vgpr47
	s_and_saveexec_b64 s[10:11], vcc
	s_xor_b64 s[10:11], exec, s[10:11]
	s_cbranch_execz .LBB23_87
; %bb.86:                               ;   in Loop: Header=BB23_59 Depth=2
	v_add_f64 v[6:7], v[6:7], -v[34:35]
	v_add_f64 v[30:31], v[36:37], v[36:37]
	v_div_scale_f64 v[34:35], s[12:13], v[30:31], v[30:31], v[6:7]
	v_rcp_f64_e32 v[36:37], v[34:35]
	v_fma_f64 v[38:39], -v[34:35], v[36:37], 1.0
	v_fmac_f64_e32 v[36:37], v[36:37], v[38:39]
	v_fma_f64 v[38:39], -v[34:35], v[36:37], 1.0
	v_fmac_f64_e32 v[36:37], v[36:37], v[38:39]
	v_div_scale_f64 v[38:39], vcc, v[6:7], v[30:31], v[6:7]
	v_mul_f64 v[40:41], v[38:39], v[36:37]
	v_fma_f64 v[34:35], -v[34:35], v[40:41], v[38:39]
	s_nop 1
	v_div_fmas_f64 v[34:35], v[34:35], v[36:37], v[40:41]
	v_div_fixup_f64 v[46:47], v[34:35], v[30:31], v[6:7]
                                        ; implicit-def: $vgpr30_vgpr31
                                        ; implicit-def: $vgpr6_vgpr7
                                        ; implicit-def: $vgpr34_vgpr35
.LBB23_87:                              ;   in Loop: Header=BB23_59 Depth=2
	s_andn2_saveexec_b64 s[10:11], s[10:11]
	s_cbranch_execz .LBB23_89
; %bb.88:                               ;   in Loop: Header=BB23_59 Depth=2
	v_add_f64 v[30:31], v[30:31], v[30:31]
	v_add_f64 v[6:7], v[6:7], v[34:35]
	v_div_scale_f64 v[34:35], s[12:13], v[6:7], v[6:7], v[30:31]
	v_rcp_f64_e32 v[36:37], v[34:35]
	v_fma_f64 v[38:39], -v[34:35], v[36:37], 1.0
	v_fmac_f64_e32 v[36:37], v[36:37], v[38:39]
	v_fma_f64 v[38:39], -v[34:35], v[36:37], 1.0
	v_fmac_f64_e32 v[36:37], v[36:37], v[38:39]
	v_div_scale_f64 v[38:39], vcc, v[30:31], v[6:7], v[30:31]
	v_mul_f64 v[40:41], v[38:39], v[36:37]
	v_fma_f64 v[34:35], -v[34:35], v[40:41], v[38:39]
	s_nop 1
	v_div_fmas_f64 v[34:35], v[34:35], v[36:37], v[40:41]
	v_div_fixup_f64 v[46:47], v[34:35], v[6:7], v[30:31]
.LBB23_89:                              ;   in Loop: Header=BB23_59 Depth=2
	s_or_b64 exec, exec, s[10:11]
	v_mul_f64 v[50:51], v[32:33], 0.5
	v_add_f64 v[6:7], v[2:3], v[46:47]
	v_pk_mov_b32 v[48:49], 0, 0
	v_mov_b32_e32 v30, v8
	v_pk_mov_b32 v[34:35], v[2:3], v[2:3] op_sel:[0,1]
.LBB23_90:                              ;   in Loop: Header=BB23_59 Depth=2
	s_or_b64 exec, exec, s[8:9]
	s_mov_b32 s6, -1
	s_mov_b64 s[8:9], 0
	v_pk_mov_b32 v[8:9], v[24:25], v[24:25] op_sel:[0,1]
.LBB23_91:                              ;   Parent Loop BB23_4 Depth=1
                                        ;     Parent Loop BB23_59 Depth=2
                                        ; =>    This Inner Loop Header: Depth=3
	global_load_dwordx2 v[36:37], v[8:9], off
	s_add_i32 s6, s6, 1
	v_cmp_eq_u32_e32 vcc, s6, v30
	s_or_b64 s[8:9], vcc, s[8:9]
	s_waitcnt vmcnt(0)
	v_add_f64 v[36:37], v[36:37], -v[34:35]
	global_store_dwordx2 v[8:9], v[36:37], off
	v_add_co_u32_e32 v8, vcc, 8, v8
	v_addc_co_u32_e32 v9, vcc, 0, v9, vcc
	s_andn2_b64 exec, exec, s[8:9]
	s_cbranch_execnz .LBB23_91
; %bb.92:                               ;   in Loop: Header=BB23_59 Depth=2
	s_or_b64 exec, exec, s[8:9]
	v_cmp_le_i32_e64 s[12:13], s72, v30
	v_cmp_gt_i32_e64 s[8:9], s72, v30
	s_and_saveexec_b64 s[10:11], s[8:9]
	s_cbranch_execz .LBB23_95
; %bb.93:                               ;   in Loop: Header=BB23_59 Depth=2
	v_lshlrev_b64 v[8:9], 3, v[44:45]
	v_mov_b32_e32 v1, s22
	v_add_co_u32_e32 v8, vcc, s73, v8
	v_addc_co_u32_e32 v9, vcc, v1, v9, vcc
	s_mov_b64 s[16:17], 0
	s_mov_b32 s6, s72
.LBB23_94:                              ;   Parent Loop BB23_4 Depth=1
                                        ;     Parent Loop BB23_59 Depth=2
                                        ; =>    This Inner Loop Header: Depth=3
	global_load_dwordx2 v[36:37], v[8:9], off
	s_add_i32 s6, s6, -1
	v_cmp_le_i32_e32 vcc, s6, v30
	s_or_b64 s[16:17], vcc, s[16:17]
	s_waitcnt vmcnt(0)
	v_add_f64 v[36:37], v[36:37], -v[34:35]
	global_store_dwordx2 v[8:9], v[36:37], off
	v_add_co_u32_e32 v8, vcc, -8, v8
	v_addc_co_u32_e32 v9, vcc, -1, v9, vcc
	s_andn2_b64 exec, exec, s[16:17]
	s_cbranch_execnz .LBB23_94
.LBB23_95:                              ;   in Loop: Header=BB23_59 Depth=2
	s_or_b64 exec, exec, s[10:11]
	v_mov_b32_e32 v31, v13
	v_lshlrev_b64 v[38:39], 3, v[30:31]
	v_add_co_u32_e32 v36, vcc, v24, v38
	v_addc_co_u32_e32 v37, vcc, v25, v39, vcc
	global_load_dwordx2 v[40:41], v[36:37], off
	v_pk_mov_b32 v[54:55], 0, 0
	v_cmp_lt_i32_e64 s[10:11], 0, v30
	v_pk_mov_b32 v[8:9], v[54:55], v[54:55] op_sel:[0,1]
	s_waitcnt vmcnt(0)
	v_add_f64 v[40:41], v[40:41], -v[46:47]
	global_store_dwordx2 v[36:37], v[40:41], off
	v_pk_mov_b32 v[40:41], v[54:55], v[54:55] op_sel:[0,1]
	s_and_saveexec_b64 s[44:45], s[10:11]
	s_cbranch_execz .LBB23_99
; %bb.96:                               ;   in Loop: Header=BB23_59 Depth=2
	v_pk_mov_b32 v[54:55], 0, 0
	s_mov_b64 s[46:47], 0
	s_mov_b64 s[48:49], s[30:31]
	v_pk_mov_b32 v[52:53], v[24:25], v[24:25] op_sel:[0,1]
	v_mov_b32_e32 v1, v30
	v_pk_mov_b32 v[8:9], v[54:55], v[54:55] op_sel:[0,1]
	v_pk_mov_b32 v[40:41], v[54:55], v[54:55] op_sel:[0,1]
.LBB23_97:                              ;   Parent Loop BB23_4 Depth=1
                                        ;     Parent Loop BB23_59 Depth=2
                                        ; =>    This Inner Loop Header: Depth=3
	global_load_dwordx2 v[56:57], v[52:53], off
	v_add_u32_e32 v1, -1, v1
	v_cmp_eq_u32_e32 vcc, 0, v1
	s_waitcnt vmcnt(0)
	v_add_f64 v[56:57], v[56:57], -v[46:47]
	global_store_dwordx2 v[52:53], v[56:57], off
	global_load_dwordx2 v[58:59], v13, s[48:49]
	v_add_co_u32_e64 v52, s[16:17], 8, v52
	v_addc_co_u32_e64 v53, s[16:17], 0, v53, s[16:17]
	s_add_u32 s48, s48, 8
	s_addc_u32 s49, s49, 0
	s_or_b64 s[46:47], vcc, s[46:47]
	s_waitcnt vmcnt(0)
	v_div_scale_f64 v[60:61], s[16:17], v[56:57], v[56:57], v[58:59]
	v_rcp_f64_e32 v[62:63], v[60:61]
	v_div_scale_f64 v[68:69], vcc, v[58:59], v[56:57], v[58:59]
	v_fma_f64 v[70:71], -v[60:61], v[62:63], 1.0
	v_fmac_f64_e32 v[62:63], v[62:63], v[70:71]
	v_fma_f64 v[70:71], -v[60:61], v[62:63], 1.0
	v_fmac_f64_e32 v[62:63], v[62:63], v[70:71]
	v_mul_f64 v[70:71], v[68:69], v[62:63]
	v_fma_f64 v[60:61], -v[60:61], v[70:71], v[68:69]
	v_div_fmas_f64 v[60:61], v[60:61], v[62:63], v[70:71]
	v_div_fixup_f64 v[56:57], v[60:61], v[56:57], v[58:59]
	v_fmac_f64_e32 v[40:41], v[58:59], v[56:57]
	v_fmac_f64_e32 v[54:55], v[56:57], v[56:57]
	v_add_f64 v[8:9], v[8:9], v[40:41]
	s_andn2_b64 exec, exec, s[46:47]
	s_cbranch_execnz .LBB23_97
; %bb.98:                               ;   in Loop: Header=BB23_59 Depth=2
	s_or_b64 exec, exec, s[46:47]
.LBB23_99:                              ;   in Loop: Header=BB23_59 Depth=2
	s_or_b64 exec, exec, s[44:45]
	v_pk_mov_b32 v[58:59], 0, 0
	v_and_b32_e32 v9, 0x7fffffff, v9
	v_pk_mov_b32 v[56:57], v[58:59], v[58:59] op_sel:[0,1]
	s_and_saveexec_b64 s[44:45], s[8:9]
	s_cbranch_execz .LBB23_103
; %bb.100:                              ;   in Loop: Header=BB23_59 Depth=2
	v_lshlrev_b64 v[52:53], 3, v[44:45]
	v_mov_b32_e32 v1, s22
	v_add_co_u32_e32 v52, vcc, s73, v52
	v_pk_mov_b32 v[58:59], 0, 0
	v_addc_co_u32_e32 v53, vcc, v1, v53, vcc
	s_mov_b64 s[46:47], 0
	s_mov_b64 s[48:49], s[82:83]
	s_mov_b32 s23, s72
	v_pk_mov_b32 v[56:57], v[58:59], v[58:59] op_sel:[0,1]
.LBB23_101:                             ;   Parent Loop BB23_4 Depth=1
                                        ;     Parent Loop BB23_59 Depth=2
                                        ; =>    This Inner Loop Header: Depth=3
	global_load_dwordx2 v[60:61], v[52:53], off
	s_add_i32 s23, s23, -1
	v_cmp_le_i32_e32 vcc, s23, v30
	s_waitcnt vmcnt(0)
	v_add_f64 v[60:61], v[60:61], -v[46:47]
	global_store_dwordx2 v[52:53], v[60:61], off
	global_load_dwordx2 v[62:63], v13, s[48:49]
	v_add_co_u32_e64 v52, s[16:17], -8, v52
	v_addc_co_u32_e64 v53, s[16:17], -1, v53, s[16:17]
	s_add_u32 s48, s48, -8
	s_addc_u32 s49, s49, -1
	s_or_b64 s[46:47], vcc, s[46:47]
	s_waitcnt vmcnt(0)
	v_div_scale_f64 v[68:69], s[16:17], v[60:61], v[60:61], v[62:63]
	v_rcp_f64_e32 v[70:71], v[68:69]
	v_div_scale_f64 v[72:73], vcc, v[62:63], v[60:61], v[62:63]
	v_fma_f64 v[74:75], -v[68:69], v[70:71], 1.0
	v_fmac_f64_e32 v[70:71], v[70:71], v[74:75]
	v_fma_f64 v[74:75], -v[68:69], v[70:71], 1.0
	v_fmac_f64_e32 v[70:71], v[70:71], v[74:75]
	v_mul_f64 v[74:75], v[72:73], v[70:71]
	v_fma_f64 v[68:69], -v[68:69], v[74:75], v[72:73]
	v_div_fmas_f64 v[68:69], v[68:69], v[70:71], v[74:75]
	v_div_fixup_f64 v[60:61], v[68:69], v[60:61], v[62:63]
	v_fmac_f64_e32 v[56:57], v[62:63], v[60:61]
	v_fmac_f64_e32 v[58:59], v[60:61], v[60:61]
	v_add_f64 v[8:9], v[8:9], v[56:57]
	s_andn2_b64 exec, exec, s[46:47]
	s_cbranch_execnz .LBB23_101
; %bb.102:                              ;   in Loop: Header=BB23_59 Depth=2
	s_or_b64 exec, exec, s[46:47]
.LBB23_103:                             ;   in Loop: Header=BB23_59 Depth=2
	s_or_b64 exec, exec, s[44:45]
	v_mov_b32_e32 v1, s31
	v_add_co_u32_e32 v38, vcc, s30, v38
	v_addc_co_u32_e32 v39, vcc, v1, v39, vcc
	global_load_dwordx2 v[52:53], v[36:37], off
	global_load_dwordx2 v[60:61], v[38:39], off
	v_add_f64 v[58:59], v[54:55], v[58:59]
	v_add_f64 v[62:63], v[16:17], v[40:41]
	v_add_f64 v[40:41], v[56:57], -v[40:41]
	v_add_f64 v[56:57], v[62:63], v[56:57]
	v_pk_mov_b32 v[68:69], v[18:19], v[18:19] op_sel:[0,1]
	v_fmac_f64_e32 v[68:69], 0x40200000, v[40:41]
	s_waitcnt vmcnt(0)
	v_div_scale_f64 v[54:55], s[16:17], v[52:53], v[52:53], v[60:61]
	v_rcp_f64_e32 v[70:71], v[54:55]
	v_div_scale_f64 v[62:63], vcc, v[60:61], v[52:53], v[60:61]
	v_fma_f64 v[72:73], -v[54:55], v[70:71], 1.0
	v_fmac_f64_e32 v[70:71], v[70:71], v[72:73]
	v_fma_f64 v[72:73], -v[54:55], v[70:71], 1.0
	v_fmac_f64_e32 v[70:71], v[70:71], v[72:73]
	v_mul_f64 v[72:73], v[62:63], v[70:71]
	v_fma_f64 v[54:55], -v[54:55], v[72:73], v[62:63]
	v_div_fmas_f64 v[54:55], v[54:55], v[70:71], v[72:73]
	v_div_fixup_f64 v[62:63], v[54:55], v[52:53], v[60:61]
	v_mul_f64 v[70:71], v[60:61], v[62:63]
	v_fma_f64 v[54:55], v[62:63], v[62:63], v[58:59]
	v_fma_f64 v[40:41], |v[70:71]|, s[54:55], v[68:69]
	v_fma_f64 v[40:41], |v[46:47]|, v[54:55], v[40:41]
	v_add_f64 v[8:9], v[8:9], v[40:41]
	v_fmac_f64_e32 v[56:57], v[60:61], v[62:63]
	v_mul_f64 v[8:9], v[8:9], s[26:27]
	v_cmp_nle_f64_e64 s[16:17], |v[56:57]|, v[8:9]
	s_and_saveexec_b64 s[90:91], s[16:17]
	s_cbranch_execz .LBB23_183
; %bb.104:                              ;   in Loop: Header=BB23_59 Depth=2
	v_cndmask_b32_e64 v1, 8, 0, s[4:5]
	v_add_co_u32_e32 v40, vcc, v28, v1
	v_addc_co_u32_e32 v41, vcc, 0, v29, vcc
	global_load_dwordx2 v[60:61], v[40:41], off
	global_load_dwordx4 v[6:9], v[26:27], off
	v_add_f64 v[40:41], v[2:3], -v[4:5]
	v_cndmask_b32_e64 v3, v33, v41, s[4:5]
	v_cndmask_b32_e64 v2, v32, v40, s[4:5]
	s_waitcnt vmcnt(1)
	v_mul_f64 v[2:3], v[2:3], v[60:61]
	s_waitcnt vmcnt(0)
	v_cndmask_b32_e64 v63, v9, v7, s[4:5]
	v_cndmask_b32_e64 v62, v8, v6, s[4:5]
	;; [unrolled: 1-line block ×4, first 2 shown]
	v_mul_f64 v[2:3], v[60:61], v[2:3]
	v_fma_f64 v[72:73], -v[54:55], v[4:5], v[56:57]
	v_div_scale_f64 v[4:5], s[16:17], v[62:63], v[62:63], v[2:3]
	v_rcp_f64_e32 v[60:61], v[4:5]
	v_div_scale_f64 v[76:77], vcc, v[2:3], v[62:63], v[2:3]
	v_mul_f64 v[70:71], v[6:7], v[8:9]
	v_fma_f64 v[78:79], -v[4:5], v[60:61], 1.0
	v_fmac_f64_e32 v[60:61], v[60:61], v[78:79]
	v_fma_f64 v[78:79], -v[4:5], v[60:61], 1.0
	v_fmac_f64_e32 v[60:61], v[60:61], v[78:79]
	v_mul_f64 v[78:79], v[76:77], v[60:61]
	v_fma_f64 v[4:5], -v[4:5], v[78:79], v[76:77]
	v_div_fmas_f64 v[4:5], v[4:5], v[60:61], v[78:79]
	v_div_fixup_f64 v[2:3], v[4:5], v[62:63], v[2:3]
	v_div_scale_f64 v[60:61], s[16:17], v[62:63], v[62:63], v[2:3]
	v_rcp_f64_e32 v[76:77], v[60:61]
	v_add_f64 v[68:69], v[6:7], v[8:9]
	v_mul_f64 v[74:75], v[54:55], v[70:71]
	v_fma_f64 v[4:5], v[56:57], v[68:69], -v[74:75]
	v_fma_f64 v[74:75], -v[60:61], v[76:77], 1.0
	v_fmac_f64_e32 v[76:77], v[76:77], v[74:75]
	v_fma_f64 v[74:75], -v[60:61], v[76:77], 1.0
	v_div_scale_f64 v[68:69], vcc, v[2:3], v[62:63], v[2:3]
	v_fmac_f64_e32 v[76:77], v[76:77], v[74:75]
	v_mul_f64 v[74:75], v[68:69], v[76:77]
	v_fma_f64 v[60:61], -v[60:61], v[74:75], v[68:69]
	s_nop 0
	v_div_fmas_f64 v[60:61], v[60:61], v[76:77], v[74:75]
	v_div_fixup_f64 v[2:3], v[60:61], v[62:63], v[2:3]
	v_add_f64 v[62:63], v[72:73], -v[2:3]
	v_mul_f64 v[60:61], v[56:57], v[70:71]
	v_cmp_neq_f64_e32 vcc, 0, v[62:63]
                                        ; implicit-def: $vgpr2_vgpr3
	s_and_saveexec_b64 s[16:17], vcc
	s_xor_b64 s[16:17], exec, s[16:17]
	s_cbranch_execz .LBB23_110
; %bb.105:                              ;   in Loop: Header=BB23_59 Depth=2
	v_mul_f64 v[2:3], v[60:61], -4.0
	v_mul_f64 v[2:3], v[2:3], v[62:63]
	v_fmac_f64_e32 v[2:3], v[4:5], v[4:5]
	v_cmp_lt_f64_e64 vcc, |v[2:3]|, s[24:25]
	v_cndmask_b32_e64 v1, 0, 1, vcc
	v_lshlrev_b32_e32 v1, 8, v1
	v_ldexp_f64 v[2:3], |v[2:3]|, v1
	v_rsq_f64_e32 v[6:7], v[2:3]
	v_cndmask_b32_e32 v1, 0, v67, vcc
	v_cmp_class_f64_e32 vcc, v[2:3], v66
	v_mul_f64 v[8:9], v[2:3], v[6:7]
	v_mul_f64 v[6:7], v[6:7], 0.5
	v_fma_f64 v[58:59], -v[6:7], v[8:9], 0.5
	v_fmac_f64_e32 v[8:9], v[8:9], v[58:59]
	v_fmac_f64_e32 v[6:7], v[6:7], v[58:59]
	v_fma_f64 v[58:59], -v[8:9], v[8:9], v[2:3]
	v_fmac_f64_e32 v[8:9], v[58:59], v[6:7]
	v_fma_f64 v[58:59], -v[8:9], v[8:9], v[2:3]
	v_fmac_f64_e32 v[8:9], v[58:59], v[6:7]
	v_ldexp_f64 v[6:7], v[8:9], v1
	v_cndmask_b32_e32 v7, v7, v3, vcc
	v_cndmask_b32_e32 v6, v6, v2, vcc
	v_cmp_ge_f64_e32 vcc, 0, v[4:5]
                                        ; implicit-def: $vgpr2_vgpr3
	s_and_saveexec_b64 s[44:45], vcc
	s_xor_b64 s[44:45], exec, s[44:45]
	s_cbranch_execz .LBB23_107
; %bb.106:                              ;   in Loop: Header=BB23_59 Depth=2
	v_add_f64 v[2:3], v[4:5], -v[6:7]
	v_add_f64 v[4:5], v[62:63], v[62:63]
	v_div_scale_f64 v[6:7], s[46:47], v[4:5], v[4:5], v[2:3]
	v_rcp_f64_e32 v[8:9], v[6:7]
	v_fma_f64 v[58:59], -v[6:7], v[8:9], 1.0
	v_fmac_f64_e32 v[8:9], v[8:9], v[58:59]
	v_fma_f64 v[58:59], -v[6:7], v[8:9], 1.0
	v_fmac_f64_e32 v[8:9], v[8:9], v[58:59]
	v_div_scale_f64 v[58:59], vcc, v[2:3], v[4:5], v[2:3]
	v_mul_f64 v[60:61], v[58:59], v[8:9]
	v_fma_f64 v[6:7], -v[6:7], v[60:61], v[58:59]
	s_nop 1
	v_div_fmas_f64 v[6:7], v[6:7], v[8:9], v[60:61]
	v_div_fixup_f64 v[2:3], v[6:7], v[4:5], v[2:3]
                                        ; implicit-def: $vgpr60_vgpr61
                                        ; implicit-def: $vgpr4_vgpr5
                                        ; implicit-def: $vgpr6_vgpr7
.LBB23_107:                             ;   in Loop: Header=BB23_59 Depth=2
	s_andn2_saveexec_b64 s[44:45], s[44:45]
	s_cbranch_execz .LBB23_109
; %bb.108:                              ;   in Loop: Header=BB23_59 Depth=2
	v_add_f64 v[2:3], v[60:61], v[60:61]
	v_add_f64 v[4:5], v[4:5], v[6:7]
	v_div_scale_f64 v[6:7], s[46:47], v[4:5], v[4:5], v[2:3]
	v_rcp_f64_e32 v[8:9], v[6:7]
	v_fma_f64 v[58:59], -v[6:7], v[8:9], 1.0
	v_fmac_f64_e32 v[8:9], v[8:9], v[58:59]
	v_fma_f64 v[58:59], -v[6:7], v[8:9], 1.0
	v_fmac_f64_e32 v[8:9], v[8:9], v[58:59]
	v_div_scale_f64 v[58:59], vcc, v[2:3], v[4:5], v[2:3]
	v_mul_f64 v[60:61], v[58:59], v[8:9]
	v_fma_f64 v[6:7], -v[6:7], v[60:61], v[58:59]
	s_nop 1
	v_div_fmas_f64 v[6:7], v[6:7], v[8:9], v[60:61]
	v_div_fixup_f64 v[2:3], v[6:7], v[4:5], v[2:3]
.LBB23_109:                             ;   in Loop: Header=BB23_59 Depth=2
	s_or_b64 exec, exec, s[44:45]
                                        ; implicit-def: $vgpr4_vgpr5
                                        ; implicit-def: $vgpr60_vgpr61
                                        ; implicit-def: $vgpr8_vgpr9
                                        ; implicit-def: $vgpr58_vgpr59
.LBB23_110:                             ;   in Loop: Header=BB23_59 Depth=2
	s_andn2_saveexec_b64 s[16:17], s[16:17]
	s_cbranch_execz .LBB23_118
; %bb.111:                              ;   in Loop: Header=BB23_59 Depth=2
	v_cmp_eq_f64_e32 vcc, 0, v[4:5]
	s_and_saveexec_b64 s[44:45], vcc
	s_cbranch_execz .LBB23_117
; %bb.112:                              ;   in Loop: Header=BB23_59 Depth=2
                                        ; implicit-def: $vgpr4_vgpr5
	s_and_saveexec_b64 s[46:47], s[14:15]
	s_xor_b64 s[46:47], exec, s[46:47]
	s_cbranch_execz .LBB23_114
; %bb.113:                              ;   in Loop: Header=BB23_59 Depth=2
	global_load_dwordx2 v[2:3], v[28:29], off offset:8
                                        ; implicit-def: $vgpr8_vgpr9
	s_waitcnt vmcnt(0)
	v_mul_f64 v[4:5], v[2:3], v[2:3]
	v_mul_f64 v[2:3], v[6:7], v[6:7]
	v_fmac_f64_e32 v[4:5], v[58:59], v[2:3]
                                        ; implicit-def: $vgpr58_vgpr59
.LBB23_114:                             ;   in Loop: Header=BB23_59 Depth=2
	s_andn2_saveexec_b64 s[46:47], s[46:47]
	s_cbranch_execz .LBB23_116
; %bb.115:                              ;   in Loop: Header=BB23_59 Depth=2
	global_load_dwordx2 v[2:3], v[28:29], off
	s_waitcnt vmcnt(0)
	v_mul_f64 v[4:5], v[2:3], v[2:3]
	v_mul_f64 v[2:3], v[8:9], v[8:9]
	v_fmac_f64_e32 v[4:5], v[58:59], v[2:3]
.LBB23_116:                             ;   in Loop: Header=BB23_59 Depth=2
	s_or_b64 exec, exec, s[46:47]
.LBB23_117:                             ;   in Loop: Header=BB23_59 Depth=2
	s_or_b64 exec, exec, s[44:45]
	v_div_scale_f64 v[2:3], s[44:45], v[4:5], v[4:5], v[60:61]
	v_rcp_f64_e32 v[6:7], v[2:3]
	v_div_scale_f64 v[8:9], vcc, v[60:61], v[4:5], v[60:61]
	v_fma_f64 v[58:59], -v[2:3], v[6:7], 1.0
	v_fmac_f64_e32 v[6:7], v[6:7], v[58:59]
	v_fma_f64 v[58:59], -v[2:3], v[6:7], 1.0
	v_fmac_f64_e32 v[6:7], v[6:7], v[58:59]
	v_mul_f64 v[58:59], v[8:9], v[6:7]
	v_fma_f64 v[2:3], -v[2:3], v[58:59], v[8:9]
	v_div_fmas_f64 v[2:3], v[2:3], v[6:7], v[58:59]
	v_div_fixup_f64 v[2:3], v[2:3], v[4:5], v[60:61]
.LBB23_118:                             ;   in Loop: Header=BB23_59 Depth=2
	s_or_b64 exec, exec, s[16:17]
	v_mul_f64 v[4:5], v[56:57], v[2:3]
	v_cmp_le_f64_e32 vcc, 0, v[4:5]
	s_and_saveexec_b64 s[16:17], vcc
; %bb.119:                              ;   in Loop: Header=BB23_59 Depth=2
	v_div_scale_f64 v[2:3], s[44:45], v[54:55], v[54:55], -v[56:57]
	v_rcp_f64_e32 v[4:5], v[2:3]
	v_div_scale_f64 v[6:7], vcc, -v[56:57], v[54:55], -v[56:57]
	v_fma_f64 v[8:9], -v[2:3], v[4:5], 1.0
	v_fmac_f64_e32 v[4:5], v[4:5], v[8:9]
	v_fma_f64 v[8:9], -v[2:3], v[4:5], 1.0
	v_fmac_f64_e32 v[4:5], v[4:5], v[8:9]
	v_mul_f64 v[8:9], v[6:7], v[4:5]
	v_fma_f64 v[2:3], -v[2:3], v[8:9], v[6:7]
	v_div_fmas_f64 v[2:3], v[2:3], v[4:5], v[8:9]
	v_div_fixup_f64 v[2:3], v[2:3], v[54:55], -v[56:57]
; %bb.120:                              ;   in Loop: Header=BB23_59 Depth=2
	s_or_b64 exec, exec, s[16:17]
	v_cmp_lt_f64_e32 vcc, v[48:49], v[46:47]
	v_cndmask_b32_e32 v1, v48, v46, vcc
	v_cndmask_b32_e32 v4, v49, v47, vcc
	v_cmp_nge_f64_e32 vcc, 0, v[56:57]
	v_cndmask_b32_e32 v7, v4, v49, vcc
	v_cndmask_b32_e32 v6, v1, v48, vcc
	v_cmp_lt_f64_e32 vcc, 0, v[56:57]
	v_cmp_lt_f64_e64 s[16:17], v[46:47], v[50:51]
	s_and_b64 vcc, vcc, s[16:17]
	v_cndmask_b32_e32 v9, v51, v47, vcc
	v_cndmask_b32_e32 v8, v50, v46, vcc
	v_add_f64 v[4:5], v[46:47], v[2:3]
	v_cmp_gt_f64_e32 vcc, v[4:5], v[8:9]
	v_cmp_lt_f64_e64 s[16:17], v[4:5], v[6:7]
	s_or_b64 s[44:45], vcc, s[16:17]
	s_and_saveexec_b64 s[16:17], s[44:45]
	s_cbranch_execz .LBB23_126
; %bb.121:                              ;   in Loop: Header=BB23_59 Depth=2
	v_cmp_ngt_f64_e32 vcc, 0, v[56:57]
                                        ; implicit-def: $vgpr2_vgpr3
	s_and_saveexec_b64 s[44:45], vcc
	s_xor_b64 s[44:45], exec, s[44:45]
; %bb.122:                              ;   in Loop: Header=BB23_59 Depth=2
	v_add_f64 v[2:3], v[6:7], -v[46:47]
	v_mul_f64 v[2:3], v[2:3], 0.5
; %bb.123:                              ;   in Loop: Header=BB23_59 Depth=2
	s_andn2_saveexec_b64 s[44:45], s[44:45]
; %bb.124:                              ;   in Loop: Header=BB23_59 Depth=2
	v_add_f64 v[2:3], v[8:9], -v[46:47]
	v_mul_f64 v[2:3], v[2:3], 0.5
; %bb.125:                              ;   in Loop: Header=BB23_59 Depth=2
	s_or_b64 exec, exec, s[44:45]
.LBB23_126:                             ;   in Loop: Header=BB23_59 Depth=2
	s_or_b64 exec, exec, s[16:17]
	v_add_f64 v[4:5], v[52:53], -v[2:3]
	v_pk_mov_b32 v[48:49], 0, 0
	global_store_dwordx2 v[36:37], v[4:5], off
	v_pk_mov_b32 v[4:5], v[48:49], v[48:49] op_sel:[0,1]
	v_pk_mov_b32 v[58:59], v[48:49], v[48:49] op_sel:[0,1]
	s_and_saveexec_b64 s[44:45], s[10:11]
	s_cbranch_execz .LBB23_130
; %bb.127:                              ;   in Loop: Header=BB23_59 Depth=2
	v_pk_mov_b32 v[48:49], 0, 0
	s_mov_b64 s[46:47], 0
	s_mov_b64 s[48:49], s[30:31]
	v_pk_mov_b32 v[50:51], v[24:25], v[24:25] op_sel:[0,1]
	v_mov_b32_e32 v1, v30
	v_pk_mov_b32 v[4:5], v[48:49], v[48:49] op_sel:[0,1]
	v_pk_mov_b32 v[58:59], v[48:49], v[48:49] op_sel:[0,1]
.LBB23_128:                             ;   Parent Loop BB23_4 Depth=1
                                        ;     Parent Loop BB23_59 Depth=2
                                        ; =>    This Inner Loop Header: Depth=3
	global_load_dwordx2 v[52:53], v[50:51], off
	v_add_u32_e32 v1, -1, v1
	v_cmp_eq_u32_e32 vcc, 0, v1
	s_waitcnt vmcnt(0)
	v_add_f64 v[52:53], v[52:53], -v[2:3]
	global_store_dwordx2 v[50:51], v[52:53], off
	global_load_dwordx2 v[54:55], v13, s[48:49]
	v_add_co_u32_e64 v50, s[16:17], 8, v50
	v_addc_co_u32_e64 v51, s[16:17], 0, v51, s[16:17]
	s_add_u32 s48, s48, 8
	s_addc_u32 s49, s49, 0
	s_or_b64 s[46:47], vcc, s[46:47]
	s_waitcnt vmcnt(0)
	v_div_scale_f64 v[60:61], s[16:17], v[52:53], v[52:53], v[54:55]
	v_rcp_f64_e32 v[62:63], v[60:61]
	v_div_scale_f64 v[68:69], vcc, v[54:55], v[52:53], v[54:55]
	v_fma_f64 v[70:71], -v[60:61], v[62:63], 1.0
	v_fmac_f64_e32 v[62:63], v[62:63], v[70:71]
	v_fma_f64 v[70:71], -v[60:61], v[62:63], 1.0
	v_fmac_f64_e32 v[62:63], v[62:63], v[70:71]
	v_mul_f64 v[70:71], v[68:69], v[62:63]
	v_fma_f64 v[60:61], -v[60:61], v[70:71], v[68:69]
	v_div_fmas_f64 v[60:61], v[60:61], v[62:63], v[70:71]
	v_div_fixup_f64 v[52:53], v[60:61], v[52:53], v[54:55]
	v_fmac_f64_e32 v[58:59], v[54:55], v[52:53]
	v_fmac_f64_e32 v[48:49], v[52:53], v[52:53]
	v_add_f64 v[4:5], v[4:5], v[58:59]
	s_andn2_b64 exec, exec, s[46:47]
	s_cbranch_execnz .LBB23_128
; %bb.129:                              ;   in Loop: Header=BB23_59 Depth=2
	s_or_b64 exec, exec, s[46:47]
.LBB23_130:                             ;   in Loop: Header=BB23_59 Depth=2
	s_or_b64 exec, exec, s[44:45]
	v_and_b32_e32 v5, 0x7fffffff, v5
                                        ; implicit-def: $sgpr44_sgpr45
	s_and_saveexec_b64 s[16:17], s[12:13]
	s_xor_b64 s[12:13], exec, s[16:17]
; %bb.131:                              ;   in Loop: Header=BB23_59 Depth=2
	v_lshlrev_b64 v[42:43], 3, v[44:45]
	s_mov_b64 s[44:45], 0
; %bb.132:                              ;   in Loop: Header=BB23_59 Depth=2
	s_or_saveexec_b64 s[16:17], s[12:13]
	v_pk_mov_b32 v[52:53], s[44:45], s[44:45] op_sel:[0,1]
	v_pk_mov_b32 v[60:61], s[44:45], s[44:45] op_sel:[0,1]
	s_xor_b64 exec, exec, s[16:17]
	s_cbranch_execz .LBB23_136
; %bb.133:                              ;   in Loop: Header=BB23_59 Depth=2
	v_mov_b32_e32 v1, s22
	v_add_co_u32_e32 v44, vcc, s73, v42
	v_pk_mov_b32 v[52:53], 0, 0
	v_addc_co_u32_e32 v45, vcc, v1, v43, vcc
	s_mov_b64 s[44:45], 0
	s_mov_b64 s[46:47], s[82:83]
	s_mov_b32 s23, s72
	v_pk_mov_b32 v[60:61], v[52:53], v[52:53] op_sel:[0,1]
.LBB23_134:                             ;   Parent Loop BB23_4 Depth=1
                                        ;     Parent Loop BB23_59 Depth=2
                                        ; =>    This Inner Loop Header: Depth=3
	global_load_dwordx2 v[50:51], v[44:45], off
	s_add_i32 s23, s23, -1
	v_cmp_le_i32_e32 vcc, s23, v30
	s_waitcnt vmcnt(0)
	v_add_f64 v[50:51], v[50:51], -v[2:3]
	global_store_dwordx2 v[44:45], v[50:51], off
	global_load_dwordx2 v[54:55], v13, s[46:47]
	v_add_co_u32_e64 v44, s[12:13], -8, v44
	v_addc_co_u32_e64 v45, s[12:13], -1, v45, s[12:13]
	s_add_u32 s46, s46, -8
	s_addc_u32 s47, s47, -1
	s_or_b64 s[44:45], vcc, s[44:45]
	s_waitcnt vmcnt(0)
	v_div_scale_f64 v[62:63], s[12:13], v[50:51], v[50:51], v[54:55]
	v_rcp_f64_e32 v[68:69], v[62:63]
	v_div_scale_f64 v[70:71], vcc, v[54:55], v[50:51], v[54:55]
	v_fma_f64 v[72:73], -v[62:63], v[68:69], 1.0
	v_fmac_f64_e32 v[68:69], v[68:69], v[72:73]
	v_fma_f64 v[72:73], -v[62:63], v[68:69], 1.0
	v_fmac_f64_e32 v[68:69], v[68:69], v[72:73]
	v_mul_f64 v[72:73], v[70:71], v[68:69]
	v_fma_f64 v[62:63], -v[62:63], v[72:73], v[70:71]
	v_div_fmas_f64 v[62:63], v[62:63], v[68:69], v[72:73]
	v_div_fixup_f64 v[50:51], v[62:63], v[50:51], v[54:55]
	v_fmac_f64_e32 v[60:61], v[54:55], v[50:51]
	v_fmac_f64_e32 v[52:53], v[50:51], v[50:51]
	v_add_f64 v[4:5], v[4:5], v[60:61]
	s_andn2_b64 exec, exec, s[44:45]
	s_cbranch_execnz .LBB23_134
; %bb.135:                              ;   in Loop: Header=BB23_59 Depth=2
	s_or_b64 exec, exec, s[44:45]
.LBB23_136:                             ;   in Loop: Header=BB23_59 Depth=2
	s_or_b64 exec, exec, s[16:17]
	global_load_dwordx2 v[62:63], v[38:39], off
	global_load_dwordx2 v[50:51], v[36:37], off
	v_add_f64 v[44:45], v[46:47], v[2:3]
	v_add_f64 v[2:3], v[16:17], v[58:59]
	v_and_b32_e32 v71, 0x7fffffff, v57
	v_mov_b32_e32 v70, v56
	v_add_f64 v[46:47], v[2:3], v[60:61]
	v_div_scale_f64 v[2:3], s[12:13], s[56:57], s[56:57], v[70:71]
	v_add_f64 v[58:59], v[60:61], -v[58:59]
	v_rcp_f64_e32 v[60:61], v[2:3]
	v_pk_mov_b32 v[68:69], v[18:19], v[18:19] op_sel:[0,1]
	v_fmac_f64_e32 v[68:69], 0x40200000, v[58:59]
	v_div_scale_f64 v[58:59], s[12:13], v[70:71], s[56:57], v[70:71]
	v_fma_f64 v[70:71], -v[2:3], v[60:61], 1.0
	v_fmac_f64_e32 v[60:61], v[60:61], v[70:71]
	v_fma_f64 v[70:71], -v[2:3], v[60:61], 1.0
	v_mov_b32_e32 v1, s22
	v_add_co_u32_e32 v42, vcc, s73, v42
	v_fmac_f64_e32 v[60:61], v[60:61], v[70:71]
	v_addc_co_u32_e32 v43, vcc, v1, v43, vcc
	v_mul_f64 v[70:71], v[58:59], v[60:61]
	v_fma_f64 v[2:3], -v[2:3], v[70:71], v[58:59]
	v_add_f64 v[54:55], v[48:49], v[52:53]
	s_mov_b32 s23, 1
                                        ; implicit-def: $sgpr92_sgpr93
                                        ; implicit-def: $sgpr94_sgpr95
	s_waitcnt vmcnt(0)
	v_div_scale_f64 v[72:73], s[16:17], v[50:51], v[50:51], v[62:63]
	v_rcp_f64_e32 v[74:75], v[72:73]
	v_div_scale_f64 v[58:59], vcc, v[62:63], v[50:51], v[62:63]
	s_mov_b64 s[16:17], 0
	v_fma_f64 v[76:77], -v[72:73], v[74:75], 1.0
	v_fmac_f64_e32 v[74:75], v[74:75], v[76:77]
	v_fma_f64 v[76:77], -v[72:73], v[74:75], 1.0
	v_fmac_f64_e32 v[74:75], v[74:75], v[76:77]
	v_mul_f64 v[76:77], v[58:59], v[74:75]
	v_fma_f64 v[58:59], -v[72:73], v[76:77], v[58:59]
	v_div_fmas_f64 v[58:59], v[58:59], v[74:75], v[76:77]
	v_div_fixup_f64 v[58:59], v[58:59], v[50:51], v[62:63]
	s_mov_b64 vcc, s[12:13]
	v_div_fmas_f64 v[2:3], v[2:3], v[60:61], v[70:71]
	v_mul_f64 v[60:61], v[62:63], v[58:59]
	v_fmac_f64_e32 v[46:47], v[62:63], v[58:59]
	v_fmac_f64_e32 v[54:55], v[58:59], v[58:59]
	v_div_fixup_f64 v[56:57], v[2:3], s[56:57], |v[56:57]|
	v_fma_f64 v[2:3], |v[60:61]|, s[54:55], v[68:69]
	v_xor_b32_e32 v1, 0x80000000, v47
	v_cndmask_b32_e64 v60, v46, v46, s[4:5]
	v_fma_f64 v[2:3], |v[44:45]|, v[54:55], v[2:3]
	v_cndmask_b32_e64 v61, v47, v1, s[4:5]
	v_add_f64 v[2:3], v[4:5], v[2:3]
	v_cmp_gt_f64_e64 s[48:49], v[60:61], v[56:57]
	s_branch .LBB23_139
.LBB23_137:                             ;   in Loop: Header=BB23_139 Depth=3
	s_or_b64 exec, exec, s[46:47]
	global_load_dwordx2 v[60:61], v[38:39], off
	global_load_dwordx2 v[50:51], v[36:37], off
	v_add_f64 v[44:45], v[44:45], v[56:57]
	v_add_f64 v[56:57], v[16:17], v[4:5]
	v_and_b32_e32 v69, 0x7fffffff, v47
	v_mov_b32_e32 v68, v46
	v_add_f64 v[4:5], v[58:59], -v[4:5]
	v_add_f64 v[56:57], v[56:57], v[58:59]
	v_div_scale_f64 v[58:59], s[12:13], s[56:57], s[56:57], v[68:69]
	v_rcp_f64_e32 v[70:71], v[58:59]
	v_pk_mov_b32 v[62:63], v[18:19], v[18:19] op_sel:[0,1]
	v_fmac_f64_e32 v[62:63], 0x40200000, v[4:5]
	v_div_scale_f64 v[4:5], s[12:13], v[68:69], s[56:57], v[68:69]
	v_fma_f64 v[68:69], -v[58:59], v[70:71], 1.0
	v_fmac_f64_e32 v[70:71], v[70:71], v[68:69]
	v_fma_f64 v[68:69], -v[58:59], v[70:71], 1.0
	v_fmac_f64_e32 v[70:71], v[70:71], v[68:69]
	v_mul_f64 v[68:69], v[4:5], v[70:71]
	v_fma_f64 v[4:5], -v[58:59], v[68:69], v[4:5]
	s_add_i32 s23, s23, 1
	v_add_f64 v[54:55], v[48:49], v[52:53]
	s_waitcnt vmcnt(0)
	v_div_scale_f64 v[72:73], s[46:47], v[50:51], v[50:51], v[60:61]
	v_rcp_f64_e32 v[74:75], v[72:73]
	v_div_scale_f64 v[58:59], vcc, v[60:61], v[50:51], v[60:61]
	v_fma_f64 v[76:77], -v[72:73], v[74:75], 1.0
	v_fmac_f64_e32 v[74:75], v[74:75], v[76:77]
	v_fma_f64 v[76:77], -v[72:73], v[74:75], 1.0
	v_fmac_f64_e32 v[74:75], v[74:75], v[76:77]
	v_mul_f64 v[76:77], v[58:59], v[74:75]
	v_fma_f64 v[58:59], -v[72:73], v[76:77], v[58:59]
	v_div_fmas_f64 v[58:59], v[58:59], v[74:75], v[76:77]
	v_div_fixup_f64 v[58:59], v[58:59], v[50:51], v[60:61]
	s_mov_b64 vcc, s[12:13]
	v_div_fmas_f64 v[4:5], v[4:5], v[70:71], v[68:69]
	v_fmac_f64_e32 v[56:57], v[60:61], v[58:59]
	v_div_fixup_f64 v[4:5], v[4:5], s[56:57], |v[46:47]|
	v_mul_f64 v[46:47], v[46:47], v[56:57]
	v_cmp_gt_f64_e64 s[12:13], |v[56:57]|, v[4:5]
	v_cmp_lt_f64_e32 vcc, 0, v[46:47]
	s_and_b64 s[12:13], vcc, s[12:13]
	s_xor_b64 s[12:13], s[48:49], s[12:13]
	v_mul_f64 v[68:69], v[60:61], v[58:59]
	s_cmp_eq_u32 s23, 50
	v_fmac_f64_e32 v[54:55], v[58:59], v[58:59]
	v_fma_f64 v[60:61], |v[68:69]|, s[54:55], v[62:63]
	s_cselect_b64 s[46:47], -1, 0
	s_andn2_b64 s[50:51], s[94:95], exec
	s_and_b64 s[12:13], s[12:13], exec
	v_fma_f64 v[4:5], |v[44:45]|, v[54:55], v[60:61]
	s_andn2_b64 s[66:67], s[92:93], exec
	s_or_b64 s[94:95], s[50:51], s[12:13]
	s_and_b64 s[12:13], s[46:47], exec
	v_add_f64 v[2:3], v[2:3], v[4:5]
	s_or_b64 s[92:93], s[66:67], s[12:13]
	v_pk_mov_b32 v[46:47], v[56:57], v[56:57] op_sel:[0,1]
                                        ; implicit-def: $sgpr48_sgpr49
.LBB23_138:                             ;   in Loop: Header=BB23_139 Depth=3
	s_or_b64 exec, exec, s[44:45]
	s_and_b64 s[12:13], exec, s[92:93]
	s_or_b64 s[16:17], s[12:13], s[16:17]
	s_andn2_b64 s[12:13], s[48:49], exec
	s_and_b64 s[44:45], s[94:95], exec
	s_or_b64 s[48:49], s[12:13], s[44:45]
	s_andn2_b64 exec, exec, s[16:17]
	s_cbranch_execz .LBB23_182
.LBB23_139:                             ;   Parent Loop BB23_4 Depth=1
                                        ;     Parent Loop BB23_59 Depth=2
                                        ; =>    This Loop Header: Depth=3
                                        ;         Child Loop BB23_176 Depth 4
                                        ;         Child Loop BB23_180 Depth 4
	v_mul_f64 v[2:3], v[2:3], s[26:27]
	v_cmp_nle_f64_e64 s[12:13], |v[46:47]|, v[2:3]
	s_andn2_b64 s[94:95], s[94:95], exec
	s_or_b64 s[92:93], s[92:93], exec
                                        ; implicit-def: $vgpr2_vgpr3
	s_and_saveexec_b64 s[44:45], s[12:13]
	s_cbranch_execz .LBB23_138
; %bb.140:                              ;   in Loop: Header=BB23_139 Depth=3
	global_load_dwordx4 v[2:5], v[26:27], off
	s_xor_b64 s[12:13], s[48:49], -1
                                        ; implicit-def: $vgpr62_vgpr63
	s_and_saveexec_b64 s[46:47], s[12:13]
	s_xor_b64 s[46:47], exec, s[46:47]
	s_cbranch_execz .LBB23_142
; %bb.141:                              ;   in Loop: Header=BB23_139 Depth=3
	v_fma_f64 v[56:57], v[58:59], v[58:59], v[48:49]
	v_fma_f64 v[58:59], v[58:59], v[58:59], v[52:53]
	v_cndmask_b32_e64 v49, v49, v57, s[4:5]
	v_cndmask_b32_e64 v48, v48, v56, s[4:5]
	v_cndmask_b32_e64 v53, v59, v53, s[4:5]
	v_cndmask_b32_e64 v52, v58, v52, s[4:5]
	s_waitcnt vmcnt(0)
	v_fma_f64 v[56:57], -v[48:49], v[2:3], v[46:47]
	v_fma_f64 v[62:63], -v[52:53], v[4:5], v[56:57]
.LBB23_142:                             ;   in Loop: Header=BB23_139 Depth=3
	s_andn2_saveexec_b64 s[46:47], s[46:47]
	s_cbranch_execz .LBB23_148
; %bb.143:                              ;   in Loop: Header=BB23_139 Depth=3
                                        ; implicit-def: $vgpr62_vgpr63
	s_and_saveexec_b64 s[50:51], s[14:15]
	s_xor_b64 s[50:51], exec, s[50:51]
	s_cbranch_execz .LBB23_145
; %bb.144:                              ;   in Loop: Header=BB23_139 Depth=3
	global_load_dwordx2 v[56:57], v[28:29], off offset:8
	s_waitcnt vmcnt(0)
	v_mul_f64 v[58:59], v[32:33], v[56:57]
	v_mul_f64 v[56:57], v[56:57], v[58:59]
	v_div_scale_f64 v[58:59], s[66:67], v[4:5], v[4:5], v[56:57]
	v_rcp_f64_e32 v[60:61], v[58:59]
	v_div_scale_f64 v[62:63], vcc, v[56:57], v[4:5], v[56:57]
	v_fma_f64 v[68:69], -v[58:59], v[60:61], 1.0
	v_fmac_f64_e32 v[60:61], v[60:61], v[68:69]
	v_fma_f64 v[68:69], -v[58:59], v[60:61], 1.0
	v_fmac_f64_e32 v[60:61], v[60:61], v[68:69]
	v_mul_f64 v[68:69], v[62:63], v[60:61]
	v_fma_f64 v[58:59], -v[58:59], v[68:69], v[62:63]
	v_div_fmas_f64 v[58:59], v[58:59], v[60:61], v[68:69]
	v_div_fixup_f64 v[56:57], v[58:59], v[4:5], v[56:57]
	v_div_scale_f64 v[58:59], s[66:67], v[4:5], v[4:5], v[56:57]
	v_rcp_f64_e32 v[60:61], v[58:59]
	v_div_scale_f64 v[68:69], vcc, v[56:57], v[4:5], v[56:57]
	v_fma_f64 v[62:63], -v[54:55], v[2:3], v[46:47]
	v_fma_f64 v[70:71], -v[58:59], v[60:61], 1.0
	v_fmac_f64_e32 v[60:61], v[60:61], v[70:71]
	v_fma_f64 v[70:71], -v[58:59], v[60:61], 1.0
	v_fmac_f64_e32 v[60:61], v[60:61], v[70:71]
	v_mul_f64 v[70:71], v[68:69], v[60:61]
	v_fma_f64 v[58:59], -v[58:59], v[70:71], v[68:69]
	v_div_fmas_f64 v[58:59], v[58:59], v[60:61], v[70:71]
	v_div_fixup_f64 v[56:57], v[58:59], v[4:5], v[56:57]
	v_add_f64 v[62:63], v[62:63], -v[56:57]
.LBB23_145:                             ;   in Loop: Header=BB23_139 Depth=3
	s_andn2_saveexec_b64 s[50:51], s[50:51]
	s_cbranch_execz .LBB23_147
; %bb.146:                              ;   in Loop: Header=BB23_139 Depth=3
	global_load_dwordx2 v[56:57], v[28:29], off
	s_waitcnt vmcnt(0)
	v_mul_f64 v[58:59], v[40:41], v[56:57]
	v_mul_f64 v[56:57], v[56:57], v[58:59]
	v_div_scale_f64 v[58:59], s[66:67], v[2:3], v[2:3], v[56:57]
	v_rcp_f64_e32 v[60:61], v[58:59]
	v_div_scale_f64 v[62:63], vcc, v[56:57], v[2:3], v[56:57]
	v_fma_f64 v[68:69], -v[58:59], v[60:61], 1.0
	v_fmac_f64_e32 v[60:61], v[60:61], v[68:69]
	v_fma_f64 v[68:69], -v[58:59], v[60:61], 1.0
	v_fmac_f64_e32 v[60:61], v[60:61], v[68:69]
	v_mul_f64 v[68:69], v[62:63], v[60:61]
	v_fma_f64 v[58:59], -v[58:59], v[68:69], v[62:63]
	v_div_fmas_f64 v[58:59], v[58:59], v[60:61], v[68:69]
	v_div_fixup_f64 v[56:57], v[58:59], v[2:3], v[56:57]
	v_div_scale_f64 v[58:59], s[66:67], v[2:3], v[2:3], v[56:57]
	v_rcp_f64_e32 v[60:61], v[58:59]
	v_div_scale_f64 v[68:69], vcc, v[56:57], v[2:3], v[56:57]
	v_fma_f64 v[62:63], -v[54:55], v[4:5], v[46:47]
	v_fma_f64 v[70:71], -v[58:59], v[60:61], 1.0
	v_fmac_f64_e32 v[60:61], v[60:61], v[70:71]
	v_fma_f64 v[70:71], -v[58:59], v[60:61], 1.0
	v_fmac_f64_e32 v[60:61], v[60:61], v[70:71]
	v_mul_f64 v[70:71], v[68:69], v[60:61]
	v_fma_f64 v[58:59], -v[58:59], v[70:71], v[68:69]
	v_div_fmas_f64 v[58:59], v[58:59], v[60:61], v[70:71]
	v_div_fixup_f64 v[56:57], v[58:59], v[2:3], v[56:57]
	v_add_f64 v[62:63], v[62:63], -v[56:57]
.LBB23_147:                             ;   in Loop: Header=BB23_139 Depth=3
	s_or_b64 exec, exec, s[50:51]
.LBB23_148:                             ;   in Loop: Header=BB23_139 Depth=3
	s_or_b64 exec, exec, s[46:47]
	s_waitcnt vmcnt(0)
	v_mul_f64 v[58:59], v[2:3], v[4:5]
	v_add_f64 v[56:57], v[2:3], v[4:5]
	v_mul_f64 v[60:61], v[54:55], v[58:59]
	v_fma_f64 v[60:61], v[46:47], v[56:57], -v[60:61]
	v_mul_f64 v[58:59], v[46:47], v[58:59]
	v_cmp_neq_f64_e32 vcc, 0, v[62:63]
                                        ; implicit-def: $vgpr56_vgpr57
	s_and_saveexec_b64 s[46:47], vcc
	s_xor_b64 s[46:47], exec, s[46:47]
	s_cbranch_execz .LBB23_154
; %bb.149:                              ;   in Loop: Header=BB23_139 Depth=3
	v_mul_f64 v[2:3], v[58:59], -4.0
	v_mul_f64 v[2:3], v[2:3], v[62:63]
	v_fmac_f64_e32 v[2:3], v[60:61], v[60:61]
	v_cmp_lt_f64_e64 vcc, |v[2:3]|, s[24:25]
	v_cndmask_b32_e64 v1, 0, 1, vcc
	v_lshlrev_b32_e32 v1, 8, v1
	v_ldexp_f64 v[2:3], |v[2:3]|, v1
	v_rsq_f64_e32 v[4:5], v[2:3]
	v_cndmask_b32_e32 v1, 0, v67, vcc
	v_cmp_class_f64_e32 vcc, v[2:3], v66
                                        ; implicit-def: $vgpr56_vgpr57
	v_mul_f64 v[48:49], v[2:3], v[4:5]
	v_mul_f64 v[4:5], v[4:5], 0.5
	v_fma_f64 v[52:53], -v[4:5], v[48:49], 0.5
	v_fmac_f64_e32 v[48:49], v[48:49], v[52:53]
	v_fmac_f64_e32 v[4:5], v[4:5], v[52:53]
	v_fma_f64 v[52:53], -v[48:49], v[48:49], v[2:3]
	v_fmac_f64_e32 v[48:49], v[52:53], v[4:5]
	v_fma_f64 v[52:53], -v[48:49], v[48:49], v[2:3]
	v_fmac_f64_e32 v[48:49], v[52:53], v[4:5]
	v_ldexp_f64 v[4:5], v[48:49], v1
	v_cndmask_b32_e32 v3, v5, v3, vcc
	v_cndmask_b32_e32 v2, v4, v2, vcc
	v_cmp_ge_f64_e32 vcc, 0, v[60:61]
	s_and_saveexec_b64 s[50:51], vcc
	s_xor_b64 s[50:51], exec, s[50:51]
	s_cbranch_execz .LBB23_151
; %bb.150:                              ;   in Loop: Header=BB23_139 Depth=3
	v_add_f64 v[2:3], v[60:61], -v[2:3]
	v_add_f64 v[4:5], v[62:63], v[62:63]
	v_div_scale_f64 v[48:49], s[66:67], v[4:5], v[4:5], v[2:3]
	v_rcp_f64_e32 v[52:53], v[48:49]
                                        ; implicit-def: $vgpr60_vgpr61
	v_fma_f64 v[56:57], -v[48:49], v[52:53], 1.0
	v_fmac_f64_e32 v[52:53], v[52:53], v[56:57]
	v_fma_f64 v[56:57], -v[48:49], v[52:53], 1.0
	v_fmac_f64_e32 v[52:53], v[52:53], v[56:57]
	v_div_scale_f64 v[56:57], vcc, v[2:3], v[4:5], v[2:3]
	v_mul_f64 v[58:59], v[56:57], v[52:53]
	v_fma_f64 v[48:49], -v[48:49], v[58:59], v[56:57]
	s_nop 1
	v_div_fmas_f64 v[48:49], v[48:49], v[52:53], v[58:59]
	v_div_fixup_f64 v[56:57], v[48:49], v[4:5], v[2:3]
                                        ; implicit-def: $vgpr58_vgpr59
                                        ; implicit-def: $vgpr2_vgpr3
.LBB23_151:                             ;   in Loop: Header=BB23_139 Depth=3
	s_andn2_saveexec_b64 s[50:51], s[50:51]
	s_cbranch_execz .LBB23_153
; %bb.152:                              ;   in Loop: Header=BB23_139 Depth=3
	v_add_f64 v[4:5], v[58:59], v[58:59]
	v_add_f64 v[2:3], v[60:61], v[2:3]
	v_div_scale_f64 v[48:49], s[66:67], v[2:3], v[2:3], v[4:5]
	v_rcp_f64_e32 v[52:53], v[48:49]
	v_fma_f64 v[56:57], -v[48:49], v[52:53], 1.0
	v_fmac_f64_e32 v[52:53], v[52:53], v[56:57]
	v_fma_f64 v[56:57], -v[48:49], v[52:53], 1.0
	v_fmac_f64_e32 v[52:53], v[52:53], v[56:57]
	v_div_scale_f64 v[56:57], vcc, v[4:5], v[2:3], v[4:5]
	v_mul_f64 v[58:59], v[56:57], v[52:53]
	v_fma_f64 v[48:49], -v[48:49], v[58:59], v[56:57]
	s_nop 1
	v_div_fmas_f64 v[48:49], v[48:49], v[52:53], v[58:59]
	v_div_fixup_f64 v[56:57], v[48:49], v[2:3], v[4:5]
.LBB23_153:                             ;   in Loop: Header=BB23_139 Depth=3
	s_or_b64 exec, exec, s[50:51]
                                        ; implicit-def: $vgpr60_vgpr61
                                        ; implicit-def: $vgpr58_vgpr59
                                        ; implicit-def: $vgpr2_vgpr3
                                        ; implicit-def: $vgpr52_vgpr53
                                        ; implicit-def: $vgpr48_vgpr49
.LBB23_154:                             ;   in Loop: Header=BB23_139 Depth=3
	s_andn2_saveexec_b64 s[46:47], s[46:47]
	s_cbranch_execz .LBB23_166
; %bb.155:                              ;   in Loop: Header=BB23_139 Depth=3
	v_cmp_eq_f64_e32 vcc, 0, v[60:61]
	s_and_saveexec_b64 s[50:51], vcc
	s_cbranch_execz .LBB23_165
; %bb.156:                              ;   in Loop: Header=BB23_139 Depth=3
                                        ; implicit-def: $vgpr60_vgpr61
	s_and_saveexec_b64 s[66:67], s[12:13]
	s_xor_b64 s[12:13], exec, s[66:67]
; %bb.157:                              ;   in Loop: Header=BB23_139 Depth=3
	v_mul_f64 v[4:5], v[4:5], v[4:5]
	v_mul_f64 v[2:3], v[2:3], v[2:3]
	;; [unrolled: 1-line block ×3, first 2 shown]
	v_fmac_f64_e32 v[60:61], v[2:3], v[48:49]
                                        ; implicit-def: $vgpr4_vgpr5
                                        ; implicit-def: $vgpr48_vgpr49
                                        ; implicit-def: $vgpr52_vgpr53
; %bb.158:                              ;   in Loop: Header=BB23_139 Depth=3
	s_andn2_saveexec_b64 s[12:13], s[12:13]
	s_cbranch_execz .LBB23_164
; %bb.159:                              ;   in Loop: Header=BB23_139 Depth=3
	v_add_f64 v[48:49], v[48:49], v[52:53]
                                        ; implicit-def: $vgpr60_vgpr61
	s_and_saveexec_b64 s[66:67], s[14:15]
	s_xor_b64 s[66:67], exec, s[66:67]
	s_cbranch_execz .LBB23_161
; %bb.160:                              ;   in Loop: Header=BB23_139 Depth=3
	global_load_dwordx2 v[4:5], v[28:29], off offset:8
	v_mul_f64 v[2:3], v[2:3], v[2:3]
	s_waitcnt vmcnt(0)
	v_mul_f64 v[60:61], v[4:5], v[4:5]
	v_fmac_f64_e32 v[60:61], v[2:3], v[48:49]
                                        ; implicit-def: $vgpr4_vgpr5
                                        ; implicit-def: $vgpr48_vgpr49
.LBB23_161:                             ;   in Loop: Header=BB23_139 Depth=3
	s_andn2_saveexec_b64 s[66:67], s[66:67]
	s_cbranch_execz .LBB23_163
; %bb.162:                              ;   in Loop: Header=BB23_139 Depth=3
	global_load_dwordx2 v[2:3], v[28:29], off
	s_waitcnt vmcnt(0)
	v_mul_f64 v[60:61], v[2:3], v[2:3]
	v_mul_f64 v[2:3], v[4:5], v[4:5]
	v_fmac_f64_e32 v[60:61], v[2:3], v[48:49]
.LBB23_163:                             ;   in Loop: Header=BB23_139 Depth=3
	s_or_b64 exec, exec, s[66:67]
.LBB23_164:                             ;   in Loop: Header=BB23_139 Depth=3
	s_or_b64 exec, exec, s[12:13]
.LBB23_165:                             ;   in Loop: Header=BB23_139 Depth=3
	s_or_b64 exec, exec, s[50:51]
	v_div_scale_f64 v[2:3], s[12:13], v[60:61], v[60:61], v[58:59]
	v_rcp_f64_e32 v[4:5], v[2:3]
	v_div_scale_f64 v[48:49], vcc, v[58:59], v[60:61], v[58:59]
	v_fma_f64 v[52:53], -v[2:3], v[4:5], 1.0
	v_fmac_f64_e32 v[4:5], v[4:5], v[52:53]
	v_fma_f64 v[52:53], -v[2:3], v[4:5], 1.0
	v_fmac_f64_e32 v[4:5], v[4:5], v[52:53]
	v_mul_f64 v[52:53], v[48:49], v[4:5]
	v_fma_f64 v[2:3], -v[2:3], v[52:53], v[48:49]
	v_div_fmas_f64 v[2:3], v[2:3], v[4:5], v[52:53]
	v_div_fixup_f64 v[56:57], v[2:3], v[60:61], v[58:59]
.LBB23_166:                             ;   in Loop: Header=BB23_139 Depth=3
	s_or_b64 exec, exec, s[46:47]
	v_mul_f64 v[2:3], v[46:47], v[56:57]
	v_cmp_le_f64_e32 vcc, 0, v[2:3]
	s_and_saveexec_b64 s[12:13], vcc
; %bb.167:                              ;   in Loop: Header=BB23_139 Depth=3
	v_div_scale_f64 v[2:3], s[46:47], v[54:55], v[54:55], -v[46:47]
	v_rcp_f64_e32 v[4:5], v[2:3]
	v_div_scale_f64 v[48:49], vcc, -v[46:47], v[54:55], -v[46:47]
	v_fma_f64 v[52:53], -v[2:3], v[4:5], 1.0
	v_fmac_f64_e32 v[4:5], v[4:5], v[52:53]
	v_fma_f64 v[52:53], -v[2:3], v[4:5], 1.0
	v_fmac_f64_e32 v[4:5], v[4:5], v[52:53]
	v_mul_f64 v[52:53], v[48:49], v[4:5]
	v_fma_f64 v[2:3], -v[2:3], v[52:53], v[48:49]
	v_div_fmas_f64 v[2:3], v[2:3], v[4:5], v[52:53]
	v_div_fixup_f64 v[56:57], v[2:3], v[54:55], -v[46:47]
; %bb.168:                              ;   in Loop: Header=BB23_139 Depth=3
	s_or_b64 exec, exec, s[12:13]
	v_cmp_lt_f64_e32 vcc, v[6:7], v[44:45]
	v_cndmask_b32_e32 v1, v6, v44, vcc
	v_cndmask_b32_e32 v2, v7, v45, vcc
	v_cmp_nge_f64_e32 vcc, 0, v[46:47]
	v_cndmask_b32_e32 v7, v2, v7, vcc
	v_cndmask_b32_e32 v6, v1, v6, vcc
	v_cmp_lt_f64_e32 vcc, 0, v[46:47]
	v_cmp_lt_f64_e64 s[12:13], v[44:45], v[8:9]
	s_and_b64 vcc, vcc, s[12:13]
	v_cndmask_b32_e32 v9, v9, v45, vcc
	v_cndmask_b32_e32 v8, v8, v44, vcc
	v_add_f64 v[2:3], v[44:45], v[56:57]
	v_cmp_gt_f64_e32 vcc, v[2:3], v[8:9]
	v_cmp_lt_f64_e64 s[12:13], v[2:3], v[6:7]
	s_or_b64 s[46:47], vcc, s[12:13]
	s_and_saveexec_b64 s[12:13], s[46:47]
	s_cbranch_execz .LBB23_174
; %bb.169:                              ;   in Loop: Header=BB23_139 Depth=3
	v_cmp_ngt_f64_e32 vcc, 0, v[46:47]
                                        ; implicit-def: $vgpr56_vgpr57
	s_and_saveexec_b64 s[46:47], vcc
	s_xor_b64 s[46:47], exec, s[46:47]
; %bb.170:                              ;   in Loop: Header=BB23_139 Depth=3
	v_add_f64 v[2:3], v[6:7], -v[44:45]
	v_mul_f64 v[56:57], v[2:3], 0.5
; %bb.171:                              ;   in Loop: Header=BB23_139 Depth=3
	s_andn2_saveexec_b64 s[46:47], s[46:47]
; %bb.172:                              ;   in Loop: Header=BB23_139 Depth=3
	v_add_f64 v[2:3], v[8:9], -v[44:45]
	v_mul_f64 v[56:57], v[2:3], 0.5
; %bb.173:                              ;   in Loop: Header=BB23_139 Depth=3
	s_or_b64 exec, exec, s[46:47]
.LBB23_174:                             ;   in Loop: Header=BB23_139 Depth=3
	s_or_b64 exec, exec, s[12:13]
	v_add_f64 v[2:3], v[50:51], -v[56:57]
	v_pk_mov_b32 v[48:49], 0, 0
	global_store_dwordx2 v[36:37], v[2:3], off
	v_pk_mov_b32 v[2:3], v[48:49], v[48:49] op_sel:[0,1]
	v_pk_mov_b32 v[4:5], v[48:49], v[48:49] op_sel:[0,1]
	s_and_saveexec_b64 s[46:47], s[10:11]
	s_cbranch_execz .LBB23_178
; %bb.175:                              ;   in Loop: Header=BB23_139 Depth=3
	v_pk_mov_b32 v[48:49], 0, 0
	s_mov_b64 s[50:51], 0
	s_mov_b64 s[66:67], s[30:31]
	v_pk_mov_b32 v[50:51], v[24:25], v[24:25] op_sel:[0,1]
	v_mov_b32_e32 v1, v30
	v_pk_mov_b32 v[2:3], v[48:49], v[48:49] op_sel:[0,1]
	v_pk_mov_b32 v[4:5], v[48:49], v[48:49] op_sel:[0,1]
.LBB23_176:                             ;   Parent Loop BB23_4 Depth=1
                                        ;     Parent Loop BB23_59 Depth=2
                                        ;       Parent Loop BB23_139 Depth=3
                                        ; =>      This Inner Loop Header: Depth=4
	global_load_dwordx2 v[52:53], v[50:51], off
	v_add_u32_e32 v1, -1, v1
	v_cmp_eq_u32_e32 vcc, 0, v1
	s_waitcnt vmcnt(0)
	v_add_f64 v[52:53], v[52:53], -v[56:57]
	global_store_dwordx2 v[50:51], v[52:53], off
	global_load_dwordx2 v[54:55], v13, s[66:67]
	v_add_co_u32_e64 v50, s[12:13], 8, v50
	v_addc_co_u32_e64 v51, s[12:13], 0, v51, s[12:13]
	s_add_u32 s66, s66, 8
	s_addc_u32 s67, s67, 0
	s_or_b64 s[50:51], vcc, s[50:51]
	s_waitcnt vmcnt(0)
	v_div_scale_f64 v[58:59], s[12:13], v[52:53], v[52:53], v[54:55]
	v_rcp_f64_e32 v[60:61], v[58:59]
	v_div_scale_f64 v[62:63], vcc, v[54:55], v[52:53], v[54:55]
	v_fma_f64 v[68:69], -v[58:59], v[60:61], 1.0
	v_fmac_f64_e32 v[60:61], v[60:61], v[68:69]
	v_fma_f64 v[68:69], -v[58:59], v[60:61], 1.0
	v_fmac_f64_e32 v[60:61], v[60:61], v[68:69]
	v_mul_f64 v[68:69], v[62:63], v[60:61]
	v_fma_f64 v[58:59], -v[58:59], v[68:69], v[62:63]
	v_div_fmas_f64 v[58:59], v[58:59], v[60:61], v[68:69]
	v_div_fixup_f64 v[52:53], v[58:59], v[52:53], v[54:55]
	v_fmac_f64_e32 v[4:5], v[54:55], v[52:53]
	v_fmac_f64_e32 v[48:49], v[52:53], v[52:53]
	v_add_f64 v[2:3], v[2:3], v[4:5]
	s_andn2_b64 exec, exec, s[50:51]
	s_cbranch_execnz .LBB23_176
; %bb.177:                              ;   in Loop: Header=BB23_139 Depth=3
	s_or_b64 exec, exec, s[50:51]
.LBB23_178:                             ;   in Loop: Header=BB23_139 Depth=3
	s_or_b64 exec, exec, s[46:47]
	v_pk_mov_b32 v[52:53], 0, 0
	v_and_b32_e32 v3, 0x7fffffff, v3
	v_pk_mov_b32 v[58:59], v[52:53], v[52:53] op_sel:[0,1]
	s_and_saveexec_b64 s[46:47], s[8:9]
	s_cbranch_execz .LBB23_137
; %bb.179:                              ;   in Loop: Header=BB23_139 Depth=3
	v_pk_mov_b32 v[52:53], 0, 0
	s_mov_b64 s[50:51], 0
	s_mov_b64 s[66:67], s[82:83]
	v_pk_mov_b32 v[50:51], v[42:43], v[42:43] op_sel:[0,1]
	s_mov_b32 s6, s72
	v_pk_mov_b32 v[58:59], v[52:53], v[52:53] op_sel:[0,1]
.LBB23_180:                             ;   Parent Loop BB23_4 Depth=1
                                        ;     Parent Loop BB23_59 Depth=2
                                        ;       Parent Loop BB23_139 Depth=3
                                        ; =>      This Inner Loop Header: Depth=4
	global_load_dwordx2 v[54:55], v[50:51], off
	s_add_i32 s6, s6, -1
	v_cmp_le_i32_e32 vcc, s6, v30
	s_waitcnt vmcnt(0)
	v_add_f64 v[54:55], v[54:55], -v[56:57]
	global_store_dwordx2 v[50:51], v[54:55], off
	global_load_dwordx2 v[60:61], v13, s[66:67]
	v_add_co_u32_e64 v50, s[12:13], -8, v50
	v_addc_co_u32_e64 v51, s[12:13], -1, v51, s[12:13]
	s_add_u32 s66, s66, -8
	s_addc_u32 s67, s67, -1
	s_or_b64 s[50:51], vcc, s[50:51]
	s_waitcnt vmcnt(0)
	v_div_scale_f64 v[62:63], s[12:13], v[54:55], v[54:55], v[60:61]
	v_rcp_f64_e32 v[68:69], v[62:63]
	v_div_scale_f64 v[70:71], vcc, v[60:61], v[54:55], v[60:61]
	v_fma_f64 v[72:73], -v[62:63], v[68:69], 1.0
	v_fmac_f64_e32 v[68:69], v[68:69], v[72:73]
	v_fma_f64 v[72:73], -v[62:63], v[68:69], 1.0
	v_fmac_f64_e32 v[68:69], v[68:69], v[72:73]
	v_mul_f64 v[72:73], v[70:71], v[68:69]
	v_fma_f64 v[62:63], -v[62:63], v[72:73], v[70:71]
	v_div_fmas_f64 v[62:63], v[62:63], v[68:69], v[72:73]
	v_div_fixup_f64 v[54:55], v[62:63], v[54:55], v[60:61]
	v_fmac_f64_e32 v[58:59], v[60:61], v[54:55]
	v_fmac_f64_e32 v[52:53], v[54:55], v[54:55]
	v_add_f64 v[2:3], v[2:3], v[58:59]
	s_andn2_b64 exec, exec, s[50:51]
	s_cbranch_execnz .LBB23_180
; %bb.181:                              ;   in Loop: Header=BB23_139 Depth=3
	s_or_b64 exec, exec, s[50:51]
	s_branch .LBB23_137
.LBB23_182:                             ;   in Loop: Header=BB23_59 Depth=2
	s_or_b64 exec, exec, s[16:17]
	v_add_f64 v[6:7], v[34:35], v[44:45]
.LBB23_183:                             ;   in Loop: Header=BB23_59 Depth=2
	s_or_b64 exec, exec, s[90:91]
                                        ; implicit-def: $vgpr24_vgpr25
	s_andn2_saveexec_b64 s[12:13], s[88:89]
	s_cbranch_execz .LBB23_69
.LBB23_184:                             ;   in Loop: Header=BB23_59 Depth=2
	v_mov_b32_e32 v1, s77
	v_add_co_u32_e32 v6, vcc, s76, v24
	v_addc_co_u32_e32 v7, vcc, v25, v1, vcc
	global_load_dwordx4 v[2:5], v[6:7], off offset:-16
	s_andn2_b64 vcc, exec, s[74:75]
	v_pk_mov_b32 v[28:29], 0, 0
	s_waitcnt vmcnt(0)
	v_add_f64 v[26:27], v[20:21], v[4:5]
	s_cbranch_vccnz .LBB23_187
; %bb.185:                              ;   in Loop: Header=BB23_59 Depth=2
	v_pk_mov_b32 v[28:29], 0, 0
	s_mov_b64 s[4:5], s[30:31]
	v_pk_mov_b32 v[8:9], v[24:25], v[24:25] op_sel:[0,1]
	v_readlane_b32 s6, v80, 55
.LBB23_186:                             ;   Parent Loop BB23_4 Depth=1
                                        ;     Parent Loop BB23_59 Depth=2
                                        ; =>    This Inner Loop Header: Depth=3
	global_load_dwordx2 v[30:31], v[8:9], off
	global_load_dwordx2 v[32:33], v13, s[4:5]
	v_add_co_u32_e32 v8, vcc, 8, v8
	v_addc_co_u32_e32 v9, vcc, 0, v9, vcc
	s_add_i32 s6, s6, -1
	s_add_u32 s4, s4, 8
	s_addc_u32 s5, s5, 0
	s_cmp_lg_u32 s6, 0
	s_waitcnt vmcnt(1)
	v_add_f64 v[30:31], v[30:31], -v[26:27]
	s_waitcnt vmcnt(0)
	v_div_scale_f64 v[34:35], s[8:9], v[30:31], v[30:31], v[32:33]
	v_rcp_f64_e32 v[36:37], v[34:35]
	v_div_scale_f64 v[38:39], vcc, v[32:33], v[30:31], v[32:33]
	v_fma_f64 v[40:41], -v[34:35], v[36:37], 1.0
	v_fmac_f64_e32 v[36:37], v[36:37], v[40:41]
	v_fma_f64 v[40:41], -v[34:35], v[36:37], 1.0
	v_fmac_f64_e32 v[36:37], v[36:37], v[40:41]
	v_mul_f64 v[40:41], v[38:39], v[36:37]
	v_fma_f64 v[34:35], -v[34:35], v[40:41], v[38:39]
	v_div_fmas_f64 v[34:35], v[34:35], v[36:37], v[40:41]
	v_div_fixup_f64 v[30:31], v[34:35], v[30:31], v[32:33]
	v_fmac_f64_e32 v[28:29], v[32:33], v[30:31]
	s_cbranch_scc1 .LBB23_186
.LBB23_187:                             ;   in Loop: Header=BB23_59 Depth=2
	global_load_dwordx4 v[38:41], v13, s[78:79] offset:-16
	v_add_f64 v[26:27], v[2:3], -v[26:27]
	v_add_f64 v[36:37], v[16:17], v[28:29]
	v_add_f64 v[30:31], v[36:37], 0
	v_pk_mov_b32 v[8:9], v[4:5], v[4:5] op_sel:[0,1]
	s_waitcnt vmcnt(0)
	v_mul_f64 v[34:35], v[38:39], v[38:39]
	v_div_scale_f64 v[28:29], s[4:5], v[26:27], v[26:27], v[34:35]
	v_rcp_f64_e32 v[38:39], v[28:29]
	v_mul_f64 v[32:33], v[40:41], v[40:41]
	v_div_scale_f64 v[40:41], vcc, v[34:35], v[26:27], v[34:35]
	v_fma_f64 v[44:45], -v[28:29], v[38:39], 1.0
	v_fmac_f64_e32 v[38:39], v[38:39], v[44:45]
	v_fma_f64 v[44:45], -v[28:29], v[38:39], 1.0
	v_fmac_f64_e32 v[38:39], v[38:39], v[44:45]
	v_mul_f64 v[44:45], v[40:41], v[38:39]
	v_fma_f64 v[28:29], -v[28:29], v[44:45], v[40:41]
	v_div_fmas_f64 v[28:29], v[28:29], v[38:39], v[44:45]
	v_add_f64 v[42:43], v[32:33], v[32:33]
	v_div_fixup_f64 v[26:27], v[28:29], v[26:27], v[34:35]
	v_mul_f64 v[42:43], v[16:17], v[42:43]
	v_add_f64 v[26:27], v[30:31], v[26:27]
	v_cmp_ngt_f64_e32 vcc, v[26:27], v[42:43]
	v_add_f64 v[38:39], v[4:5], -v[2:3]
                                        ; implicit-def: $vgpr2_vgpr3
                                        ; implicit-def: $vgpr28_vgpr29
                                        ; implicit-def: $vgpr26_vgpr27
	s_and_saveexec_b64 s[4:5], vcc
	s_xor_b64 s[4:5], exec, s[4:5]
	s_cbranch_execz .LBB23_195
; %bb.188:                              ;   in Loop: Header=BB23_59 Depth=2
	v_add_f64 v[2:3], v[14:15], v[38:39]
	v_div_scale_f64 v[26:27], s[8:9], v[2:3], v[2:3], v[34:35]
	v_rcp_f64_e32 v[28:29], v[26:27]
	v_div_scale_f64 v[40:41], vcc, v[34:35], v[2:3], v[34:35]
	v_fma_f64 v[42:43], -v[26:27], v[28:29], 1.0
	v_fmac_f64_e32 v[28:29], v[28:29], v[42:43]
	v_fma_f64 v[42:43], -v[26:27], v[28:29], 1.0
	v_fmac_f64_e32 v[28:29], v[28:29], v[42:43]
	v_mul_f64 v[42:43], v[40:41], v[28:29]
	v_fma_f64 v[26:27], -v[26:27], v[42:43], v[40:41]
	v_div_scale_f64 v[40:41], s[8:9], v[14:15], v[14:15], v[32:33]
	v_rcp_f64_e32 v[44:45], v[40:41]
	v_div_fmas_f64 v[26:27], v[26:27], v[28:29], v[42:43]
	v_div_fixup_f64 v[2:3], v[26:27], v[2:3], v[34:35]
	v_fma_f64 v[26:27], -v[40:41], v[44:45], 1.0
	v_fmac_f64_e32 v[44:45], v[44:45], v[26:27]
	v_fma_f64 v[26:27], -v[40:41], v[44:45], 1.0
	v_fmac_f64_e32 v[44:45], v[44:45], v[26:27]
	v_div_scale_f64 v[26:27], vcc, v[32:33], v[14:15], v[32:33]
	v_mul_f64 v[28:29], v[26:27], v[44:45]
	v_fma_f64 v[26:27], -v[40:41], v[28:29], v[26:27]
	s_nop 1
	v_div_fmas_f64 v[26:27], v[26:27], v[44:45], v[28:29]
	v_div_fixup_f64 v[26:27], v[26:27], v[14:15], v[32:33]
	v_add_f64 v[2:3], v[2:3], v[26:27]
	v_cmp_nle_f64_e32 vcc, v[36:37], v[2:3]
	v_pk_mov_b32 v[2:3], v[14:15], v[14:15] op_sel:[0,1]
	s_and_saveexec_b64 s[8:9], vcc
	s_cbranch_execz .LBB23_194
; %bb.189:                              ;   in Loop: Header=BB23_59 Depth=2
	v_fma_f64 v[2:3], -v[38:39], v[30:31], v[34:35]
	v_mul_f64 v[28:29], v[38:39], v[32:33]
	v_add_f64 v[26:27], v[32:33], v[2:3]
	v_mul_f64 v[2:3], v[28:29], 4.0
	v_mul_f64 v[2:3], v[30:31], v[2:3]
	v_fmac_f64_e32 v[2:3], v[26:27], v[26:27]
	v_cmp_gt_f64_e32 vcc, s[24:25], v[2:3]
	v_cndmask_b32_e64 v1, 0, 1, vcc
	v_lshlrev_b32_e32 v1, 8, v1
	v_ldexp_f64 v[2:3], v[2:3], v1
	v_rsq_f64_e32 v[32:33], v[2:3]
	v_cndmask_b32_e32 v1, 0, v67, vcc
	v_cmp_class_f64_e32 vcc, v[2:3], v66
	v_mul_f64 v[34:35], v[2:3], v[32:33]
	v_mul_f64 v[32:33], v[32:33], 0.5
	v_fma_f64 v[36:37], -v[32:33], v[34:35], 0.5
	v_fmac_f64_e32 v[34:35], v[34:35], v[36:37]
	v_fma_f64 v[38:39], -v[34:35], v[34:35], v[2:3]
	v_fmac_f64_e32 v[32:33], v[32:33], v[36:37]
	v_fmac_f64_e32 v[34:35], v[38:39], v[32:33]
	v_fma_f64 v[36:37], -v[34:35], v[34:35], v[2:3]
	v_fmac_f64_e32 v[34:35], v[36:37], v[32:33]
	v_ldexp_f64 v[32:33], v[34:35], v1
	v_cndmask_b32_e32 v33, v33, v3, vcc
	v_cndmask_b32_e32 v32, v32, v2, vcc
	v_cmp_ngt_f64_e32 vcc, 0, v[26:27]
                                        ; implicit-def: $vgpr2_vgpr3
	s_and_saveexec_b64 s[10:11], vcc
	s_xor_b64 s[10:11], exec, s[10:11]
	s_cbranch_execz .LBB23_191
; %bb.190:                              ;   in Loop: Header=BB23_59 Depth=2
	v_add_f64 v[2:3], v[26:27], v[32:33]
	v_add_f64 v[26:27], v[30:31], v[30:31]
	v_div_scale_f64 v[28:29], s[14:15], v[26:27], v[26:27], v[2:3]
	v_rcp_f64_e32 v[30:31], v[28:29]
	v_fma_f64 v[32:33], -v[28:29], v[30:31], 1.0
	v_fmac_f64_e32 v[30:31], v[30:31], v[32:33]
	v_fma_f64 v[32:33], -v[28:29], v[30:31], 1.0
	v_fmac_f64_e32 v[30:31], v[30:31], v[32:33]
	v_div_scale_f64 v[32:33], vcc, v[2:3], v[26:27], v[2:3]
	v_mul_f64 v[34:35], v[32:33], v[30:31]
	v_fma_f64 v[28:29], -v[28:29], v[34:35], v[32:33]
                                        ; implicit-def: $vgpr32_vgpr33
	s_nop 1
	v_div_fmas_f64 v[28:29], v[28:29], v[30:31], v[34:35]
	v_div_fixup_f64 v[2:3], v[28:29], v[26:27], v[2:3]
                                        ; implicit-def: $vgpr28_vgpr29
                                        ; implicit-def: $vgpr26_vgpr27
.LBB23_191:                             ;   in Loop: Header=BB23_59 Depth=2
	s_andn2_saveexec_b64 s[10:11], s[10:11]
	s_cbranch_execz .LBB23_193
; %bb.192:                              ;   in Loop: Header=BB23_59 Depth=2
	v_add_f64 v[2:3], v[28:29], v[28:29]
	v_add_f64 v[26:27], v[32:33], -v[26:27]
	v_div_scale_f64 v[28:29], s[14:15], v[26:27], v[26:27], v[2:3]
	v_rcp_f64_e32 v[30:31], v[28:29]
	v_fma_f64 v[32:33], -v[28:29], v[30:31], 1.0
	v_fmac_f64_e32 v[30:31], v[30:31], v[32:33]
	v_fma_f64 v[32:33], -v[28:29], v[30:31], 1.0
	v_fmac_f64_e32 v[30:31], v[30:31], v[32:33]
	v_div_scale_f64 v[32:33], vcc, v[2:3], v[26:27], v[2:3]
	v_mul_f64 v[34:35], v[32:33], v[30:31]
	v_fma_f64 v[28:29], -v[28:29], v[34:35], v[32:33]
	s_nop 1
	v_div_fmas_f64 v[28:29], v[28:29], v[30:31], v[34:35]
	v_div_fixup_f64 v[2:3], v[28:29], v[26:27], v[2:3]
.LBB23_193:                             ;   in Loop: Header=BB23_59 Depth=2
	s_or_b64 exec, exec, s[10:11]
.LBB23_194:                             ;   in Loop: Header=BB23_59 Depth=2
	s_or_b64 exec, exec, s[8:9]
	v_pk_mov_b32 v[28:29], v[14:15], v[14:15] op_sel:[0,1]
	v_pk_mov_b32 v[26:27], v[20:21], v[20:21] op_sel:[0,1]
                                        ; implicit-def: $vgpr38_vgpr39
                                        ; implicit-def: $vgpr30_vgpr31
                                        ; implicit-def: $vgpr34_vgpr35
                                        ; implicit-def: $vgpr32_vgpr33
.LBB23_195:                             ;   in Loop: Header=BB23_59 Depth=2
	s_andn2_saveexec_b64 s[4:5], s[4:5]
	s_cbranch_execz .LBB23_201
; %bb.196:                              ;   in Loop: Header=BB23_59 Depth=2
	v_fma_f64 v[2:3], -v[38:39], v[30:31], v[34:35]
	v_add_f64 v[28:29], v[32:33], v[2:3]
	v_mul_f64 v[32:33], v[38:39], v[32:33]
	v_mul_f64 v[2:3], v[32:33], 4.0
	v_mul_f64 v[2:3], v[30:31], v[2:3]
	v_fmac_f64_e32 v[2:3], v[28:29], v[28:29]
	v_cmp_gt_f64_e32 vcc, s[24:25], v[2:3]
	v_cndmask_b32_e64 v1, 0, 1, vcc
	v_lshlrev_b32_e32 v1, 8, v1
	v_ldexp_f64 v[2:3], v[2:3], v1
	v_rsq_f64_e32 v[26:27], v[2:3]
	v_cndmask_b32_e32 v1, 0, v67, vcc
	v_cmp_class_f64_e32 vcc, v[2:3], v66
                                        ; implicit-def: $sgpr10_sgpr11
	v_mul_f64 v[34:35], v[2:3], v[26:27]
	v_mul_f64 v[26:27], v[26:27], 0.5
	v_fma_f64 v[36:37], -v[26:27], v[34:35], 0.5
	v_fmac_f64_e32 v[34:35], v[34:35], v[36:37]
	v_fma_f64 v[38:39], -v[34:35], v[34:35], v[2:3]
	v_fmac_f64_e32 v[26:27], v[26:27], v[36:37]
	v_fmac_f64_e32 v[34:35], v[38:39], v[26:27]
	v_fma_f64 v[36:37], -v[34:35], v[34:35], v[2:3]
	v_fmac_f64_e32 v[34:35], v[36:37], v[26:27]
	v_ldexp_f64 v[26:27], v[34:35], v1
	v_cndmask_b32_e32 v35, v27, v3, vcc
	v_cndmask_b32_e32 v34, v26, v2, vcc
	v_cmp_ngt_f64_e32 vcc, 0, v[28:29]
                                        ; implicit-def: $vgpr2_vgpr3
	s_and_saveexec_b64 s[8:9], vcc
	s_xor_b64 s[8:9], exec, s[8:9]
	s_cbranch_execz .LBB23_198
; %bb.197:                              ;   in Loop: Header=BB23_59 Depth=2
	v_add_f64 v[2:3], v[28:29], v[34:35]
	v_add_f64 v[26:27], v[30:31], v[30:31]
	v_div_scale_f64 v[28:29], s[10:11], v[26:27], v[26:27], v[2:3]
	v_rcp_f64_e32 v[30:31], v[28:29]
	s_mov_b64 s[10:11], 0
	v_fma_f64 v[32:33], -v[28:29], v[30:31], 1.0
	v_fmac_f64_e32 v[30:31], v[30:31], v[32:33]
	v_fma_f64 v[32:33], -v[28:29], v[30:31], 1.0
	v_fmac_f64_e32 v[30:31], v[30:31], v[32:33]
	v_div_scale_f64 v[32:33], vcc, v[2:3], v[26:27], v[2:3]
	v_mul_f64 v[34:35], v[32:33], v[30:31]
	v_fma_f64 v[28:29], -v[28:29], v[34:35], v[32:33]
                                        ; implicit-def: $vgpr32_vgpr33
	s_nop 1
	v_div_fmas_f64 v[28:29], v[28:29], v[30:31], v[34:35]
	v_div_fixup_f64 v[2:3], v[28:29], v[26:27], v[2:3]
                                        ; implicit-def: $vgpr34_vgpr35
                                        ; implicit-def: $vgpr28_vgpr29
.LBB23_198:                             ;   in Loop: Header=BB23_59 Depth=2
	s_or_saveexec_b64 s[8:9], s[8:9]
	v_pk_mov_b32 v[26:27], s[10:11], s[10:11] op_sel:[0,1]
	s_xor_b64 exec, exec, s[8:9]
	s_cbranch_execz .LBB23_200
; %bb.199:                              ;   in Loop: Header=BB23_59 Depth=2
	v_add_f64 v[2:3], v[32:33], v[32:33]
	v_add_f64 v[26:27], v[34:35], -v[28:29]
	v_div_scale_f64 v[28:29], s[10:11], v[26:27], v[26:27], v[2:3]
	v_rcp_f64_e32 v[30:31], v[28:29]
	v_fma_f64 v[32:33], -v[28:29], v[30:31], 1.0
	v_fmac_f64_e32 v[30:31], v[30:31], v[32:33]
	v_fma_f64 v[32:33], -v[28:29], v[30:31], 1.0
	v_fmac_f64_e32 v[30:31], v[30:31], v[32:33]
	v_div_scale_f64 v[32:33], vcc, v[2:3], v[26:27], v[2:3]
	v_mul_f64 v[34:35], v[32:33], v[30:31]
	v_fma_f64 v[28:29], -v[28:29], v[34:35], v[32:33]
	s_nop 1
	v_div_fmas_f64 v[28:29], v[28:29], v[30:31], v[34:35]
	v_div_fixup_f64 v[2:3], v[28:29], v[26:27], v[2:3]
	v_pk_mov_b32 v[26:27], 0, 0
.LBB23_200:                             ;   in Loop: Header=BB23_59 Depth=2
	s_or_b64 exec, exec, s[8:9]
	v_pk_mov_b32 v[28:29], v[20:21], v[20:21] op_sel:[0,1]
.LBB23_201:                             ;   in Loop: Header=BB23_59 Depth=2
	s_or_b64 exec, exec, s[4:5]
	v_cndmask_b32_e64 v1, 0, 1, s[80:81]
	v_cmp_ne_u32_e64 s[4:5], 1, v1
	s_andn2_b64 vcc, exec, s[80:81]
	v_pk_mov_b32 v[30:31], v[24:25], v[24:25] op_sel:[0,1]
	s_mov_b32 s6, s72
	s_cbranch_vccnz .LBB23_204
.LBB23_202:                             ;   Parent Loop BB23_4 Depth=1
                                        ;     Parent Loop BB23_59 Depth=2
                                        ; =>    This Inner Loop Header: Depth=3
	global_load_dwordx2 v[8:9], v[30:31], off
	s_add_i32 s6, s6, -1
	s_cmp_eq_u32 s6, 0
	s_waitcnt vmcnt(0)
	v_add_f64 v[8:9], v[8:9], -v[4:5]
	global_store_dwordx2 v[30:31], v[8:9], off
	v_add_co_u32_e32 v30, vcc, 8, v30
	v_addc_co_u32_e32 v31, vcc, 0, v31, vcc
	s_cbranch_scc0 .LBB23_202
; %bb.203:                              ;   in Loop: Header=BB23_59 Depth=2
	global_load_dwordx2 v[8:9], v[6:7], off offset:-8
.LBB23_204:                             ;   in Loop: Header=BB23_59 Depth=2
	s_waitcnt vmcnt(0)
	v_add_f64 v[32:33], v[8:9], -v[4:5]
	v_pk_mov_b32 v[8:9], 0, 0
	s_and_b64 vcc, exec, s[4:5]
	v_pk_mov_b32 v[30:31], v[8:9], v[8:9] op_sel:[0,1]
	v_pk_mov_b32 v[34:35], v[8:9], v[8:9] op_sel:[0,1]
	global_store_dwordx2 v[6:7], v[32:33], off offset:-8
	s_cbranch_vccnz .LBB23_208
; %bb.205:                              ;   in Loop: Header=BB23_59 Depth=2
	v_pk_mov_b32 v[8:9], 0, 0
	s_mov_b64 s[8:9], s[30:31]
	v_pk_mov_b32 v[32:33], v[24:25], v[24:25] op_sel:[0,1]
	s_mov_b32 s6, s72
	v_pk_mov_b32 v[30:31], v[8:9], v[8:9] op_sel:[0,1]
	v_pk_mov_b32 v[34:35], v[8:9], v[8:9] op_sel:[0,1]
.LBB23_206:                             ;   Parent Loop BB23_4 Depth=1
                                        ;     Parent Loop BB23_59 Depth=2
                                        ; =>    This Inner Loop Header: Depth=3
	global_load_dwordx2 v[36:37], v[32:33], off
	s_add_i32 s6, s6, -1
	s_waitcnt vmcnt(0)
	v_add_f64 v[36:37], v[36:37], -v[2:3]
	global_store_dwordx2 v[32:33], v[36:37], off
	global_load_dwordx2 v[38:39], v13, s[8:9]
	v_add_co_u32_e32 v32, vcc, 8, v32
	v_addc_co_u32_e32 v33, vcc, 0, v33, vcc
	s_add_u32 s8, s8, 8
	s_addc_u32 s9, s9, 0
	s_cmp_eq_u32 s6, 0
	s_waitcnt vmcnt(0)
	v_div_scale_f64 v[40:41], s[10:11], v[36:37], v[36:37], v[38:39]
	v_rcp_f64_e32 v[42:43], v[40:41]
	v_div_scale_f64 v[44:45], vcc, v[38:39], v[36:37], v[38:39]
	v_fma_f64 v[46:47], -v[40:41], v[42:43], 1.0
	v_fmac_f64_e32 v[42:43], v[42:43], v[46:47]
	v_fma_f64 v[46:47], -v[40:41], v[42:43], 1.0
	v_fmac_f64_e32 v[42:43], v[42:43], v[46:47]
	v_mul_f64 v[46:47], v[44:45], v[42:43]
	v_fma_f64 v[40:41], -v[40:41], v[46:47], v[44:45]
	v_div_fmas_f64 v[40:41], v[40:41], v[42:43], v[46:47]
	v_div_fixup_f64 v[36:37], v[40:41], v[36:37], v[38:39]
	v_fmac_f64_e32 v[34:35], v[38:39], v[36:37]
	v_fmac_f64_e32 v[8:9], v[36:37], v[36:37]
	v_add_f64 v[30:31], v[30:31], v[34:35]
	s_cbranch_scc0 .LBB23_206
; %bb.207:                              ;   in Loop: Header=BB23_59 Depth=2
	global_load_dwordx2 v[32:33], v[6:7], off offset:-8
.LBB23_208:                             ;   in Loop: Header=BB23_59 Depth=2
	s_waitcnt vmcnt(0)
	v_add_f64 v[32:33], v[32:33], -v[2:3]
	global_store_dwordx2 v[6:7], v[32:33], off offset:-8
	global_load_dwordx2 v[36:37], v13, s[78:79] offset:-8
	v_add_f64 v[42:43], v[16:17], v[34:35]
	s_waitcnt vmcnt(0)
	v_div_scale_f64 v[38:39], s[8:9], v[32:33], v[32:33], v[36:37]
	v_rcp_f64_e32 v[40:41], v[38:39]
	v_div_scale_f64 v[44:45], vcc, v[36:37], v[32:33], v[36:37]
	v_fma_f64 v[46:47], -v[38:39], v[40:41], 1.0
	v_fmac_f64_e32 v[40:41], v[40:41], v[46:47]
	v_fma_f64 v[46:47], -v[38:39], v[40:41], 1.0
	v_fmac_f64_e32 v[40:41], v[40:41], v[46:47]
	v_mul_f64 v[46:47], v[44:45], v[40:41]
	v_fma_f64 v[38:39], -v[38:39], v[46:47], v[44:45]
	v_div_fmas_f64 v[38:39], v[38:39], v[40:41], v[46:47]
	v_div_fixup_f64 v[38:39], v[38:39], v[32:33], v[36:37]
	v_fma_f64 v[40:41], v[36:37], v[38:39], 0
	v_add_f64 v[34:35], v[34:35], v[40:41]
	v_fma_f64 v[36:37], v[38:39], v[38:39], v[8:9]
	v_ldexp_f64 v[34:35], -v[34:35], 3
	v_fma_f64 v[34:35], |v[2:3]|, v[36:37], v[34:35]
	v_add_f64 v[34:35], v[34:35], -v[40:41]
	v_add_f64 v[44:45], |v[30:31]|, v[40:41]
	v_add_f64 v[34:35], v[16:17], v[34:35]
	v_add_f64 v[34:35], v[44:45], v[34:35]
	;; [unrolled: 1-line block ×3, first 2 shown]
	v_mul_f64 v[34:35], v[34:35], s[26:27]
	v_cmp_nle_f64_e64 s[8:9], |v[30:31]|, v[34:35]
	s_and_saveexec_b64 s[14:15], s[8:9]
	s_cbranch_execz .LBB23_250
; %bb.209:                              ;   in Loop: Header=BB23_59 Depth=2
	global_load_dwordx2 v[40:41], v[6:7], off offset:-16
	v_mul_f64 v[34:35], v[38:39], v[38:39]
	v_cmp_lt_f64_e64 s[10:11], 0, v[30:31]
	v_cmp_lt_f64_e64 s[8:9], v[2:3], v[28:29]
	s_waitcnt vmcnt(0)
	v_fma_f64 v[8:9], -v[8:9], v[40:41], v[30:31]
	v_fma_f64 v[38:39], -v[32:33], v[34:35], v[8:9]
	v_cmp_neq_f64_e32 vcc, 0, v[38:39]
                                        ; implicit-def: $vgpr34_vgpr35
	s_and_saveexec_b64 s[16:17], vcc
	s_xor_b64 s[16:17], exec, s[16:17]
	s_cbranch_execz .LBB23_215
; %bb.210:                              ;   in Loop: Header=BB23_59 Depth=2
	v_mul_f64 v[34:35], v[32:33], v[40:41]
	v_add_f64 v[8:9], v[32:33], v[40:41]
	v_mul_f64 v[40:41], v[36:37], v[34:35]
	v_fma_f64 v[8:9], v[30:31], v[8:9], -v[40:41]
	v_mul_f64 v[40:41], v[30:31], v[34:35]
	v_mul_f64 v[34:35], v[40:41], -4.0
	v_mul_f64 v[34:35], v[34:35], |v[38:39]|
	v_fmac_f64_e32 v[34:35], v[8:9], v[8:9]
	v_cmp_lt_f64_e64 vcc, |v[34:35]|, s[24:25]
	v_cndmask_b32_e64 v1, 0, 1, vcc
	v_lshlrev_b32_e32 v1, 8, v1
	v_ldexp_f64 v[34:35], |v[34:35]|, v1
	v_rsq_f64_e32 v[42:43], v[34:35]
	v_cndmask_b32_e32 v1, 0, v67, vcc
	v_cmp_class_f64_e32 vcc, v[34:35], v66
	v_mul_f64 v[44:45], v[34:35], v[42:43]
	v_mul_f64 v[42:43], v[42:43], 0.5
	v_fma_f64 v[46:47], -v[42:43], v[44:45], 0.5
	v_fmac_f64_e32 v[44:45], v[44:45], v[46:47]
	v_fma_f64 v[48:49], -v[44:45], v[44:45], v[34:35]
	v_fmac_f64_e32 v[42:43], v[42:43], v[46:47]
	v_fmac_f64_e32 v[44:45], v[48:49], v[42:43]
	v_fma_f64 v[46:47], -v[44:45], v[44:45], v[34:35]
	v_fmac_f64_e32 v[44:45], v[46:47], v[42:43]
	v_ldexp_f64 v[42:43], v[44:45], v1
	v_cndmask_b32_e32 v43, v43, v35, vcc
	v_cndmask_b32_e32 v42, v42, v34, vcc
	v_cmp_le_f64_e32 vcc, 0, v[8:9]
                                        ; implicit-def: $vgpr34_vgpr35
	s_and_saveexec_b64 s[44:45], vcc
	s_xor_b64 s[44:45], exec, s[44:45]
	s_cbranch_execz .LBB23_212
; %bb.211:                              ;   in Loop: Header=BB23_59 Depth=2
	v_add_f64 v[8:9], v[8:9], v[42:43]
	v_add_f64 v[34:35], |v[38:39]|, |v[38:39]|
	v_div_scale_f64 v[38:39], s[46:47], v[34:35], v[34:35], v[8:9]
	v_rcp_f64_e32 v[40:41], v[38:39]
	v_fma_f64 v[42:43], -v[38:39], v[40:41], 1.0
	v_fmac_f64_e32 v[40:41], v[40:41], v[42:43]
	v_fma_f64 v[42:43], -v[38:39], v[40:41], 1.0
	v_fmac_f64_e32 v[40:41], v[40:41], v[42:43]
	v_div_scale_f64 v[42:43], vcc, v[8:9], v[34:35], v[8:9]
	v_mul_f64 v[44:45], v[42:43], v[40:41]
	v_fma_f64 v[38:39], -v[38:39], v[44:45], v[42:43]
                                        ; implicit-def: $vgpr42_vgpr43
	s_nop 1
	v_div_fmas_f64 v[38:39], v[38:39], v[40:41], v[44:45]
	v_div_fixup_f64 v[34:35], v[38:39], v[34:35], v[8:9]
                                        ; implicit-def: $vgpr40_vgpr41
                                        ; implicit-def: $vgpr8_vgpr9
.LBB23_212:                             ;   in Loop: Header=BB23_59 Depth=2
	s_andn2_saveexec_b64 s[44:45], s[44:45]
	s_cbranch_execz .LBB23_214
; %bb.213:                              ;   in Loop: Header=BB23_59 Depth=2
	v_add_f64 v[34:35], v[40:41], v[40:41]
	v_add_f64 v[8:9], v[8:9], -v[42:43]
	v_div_scale_f64 v[38:39], s[46:47], v[8:9], v[8:9], v[34:35]
	v_rcp_f64_e32 v[40:41], v[38:39]
	v_fma_f64 v[42:43], -v[38:39], v[40:41], 1.0
	v_fmac_f64_e32 v[40:41], v[40:41], v[42:43]
	v_fma_f64 v[42:43], -v[38:39], v[40:41], 1.0
	v_fmac_f64_e32 v[40:41], v[40:41], v[42:43]
	v_div_scale_f64 v[42:43], vcc, v[34:35], v[8:9], v[34:35]
	v_mul_f64 v[44:45], v[42:43], v[40:41]
	v_fma_f64 v[38:39], -v[38:39], v[44:45], v[42:43]
	s_nop 1
	v_div_fmas_f64 v[38:39], v[38:39], v[40:41], v[44:45]
	v_div_fixup_f64 v[34:35], v[38:39], v[8:9], v[34:35]
.LBB23_214:                             ;   in Loop: Header=BB23_59 Depth=2
	s_or_b64 exec, exec, s[44:45]
.LBB23_215:                             ;   in Loop: Header=BB23_59 Depth=2
	s_or_saveexec_b64 s[16:17], s[16:17]
	s_and_b64 vcc, s[8:9], s[10:11]
	v_cndmask_b32_e32 v9, v29, v3, vcc
	v_cndmask_b32_e32 v8, v28, v2, vcc
	s_xor_b64 exec, exec, s[16:17]
; %bb.216:                              ;   in Loop: Header=BB23_59 Depth=2
	v_add_f64 v[34:35], v[8:9], -v[2:3]
; %bb.217:                              ;   in Loop: Header=BB23_59 Depth=2
	s_or_b64 exec, exec, s[16:17]
	v_mul_f64 v[28:29], v[30:31], v[34:35]
	v_cmp_lt_f64_e32 vcc, 0, v[28:29]
	s_and_saveexec_b64 s[8:9], vcc
; %bb.218:                              ;   in Loop: Header=BB23_59 Depth=2
	v_div_scale_f64 v[28:29], s[10:11], v[36:37], v[36:37], -v[30:31]
	v_rcp_f64_e32 v[34:35], v[28:29]
	v_div_scale_f64 v[38:39], vcc, -v[30:31], v[36:37], -v[30:31]
	v_fma_f64 v[40:41], -v[28:29], v[34:35], 1.0
	v_fmac_f64_e32 v[34:35], v[34:35], v[40:41]
	v_fma_f64 v[40:41], -v[28:29], v[34:35], 1.0
	v_fmac_f64_e32 v[34:35], v[34:35], v[40:41]
	v_mul_f64 v[40:41], v[38:39], v[34:35]
	v_fma_f64 v[28:29], -v[28:29], v[40:41], v[38:39]
	v_div_fmas_f64 v[28:29], v[28:29], v[34:35], v[40:41]
	v_div_fixup_f64 v[34:35], v[28:29], v[36:37], -v[30:31]
; %bb.219:                              ;   in Loop: Header=BB23_59 Depth=2
	s_or_b64 exec, exec, s[8:9]
	v_cmp_lt_f64_e32 vcc, v[26:27], v[2:3]
	v_cndmask_b32_e32 v1, v26, v2, vcc
	v_cndmask_b32_e32 v28, v27, v3, vcc
	v_cmp_nge_f64_e32 vcc, 0, v[30:31]
	v_cndmask_b32_e32 v27, v28, v27, vcc
	v_cndmask_b32_e32 v26, v1, v26, vcc
	v_add_f64 v[28:29], v[2:3], v[34:35]
	v_cmp_gt_f64_e32 vcc, v[28:29], v[8:9]
	v_cmp_lt_f64_e64 s[8:9], v[28:29], v[26:27]
	s_or_b64 s[10:11], vcc, s[8:9]
	s_and_saveexec_b64 s[8:9], s[10:11]
	s_cbranch_execz .LBB23_225
; %bb.220:                              ;   in Loop: Header=BB23_59 Depth=2
	v_cmp_ngt_f64_e32 vcc, 0, v[30:31]
                                        ; implicit-def: $vgpr34_vgpr35
	s_and_saveexec_b64 s[10:11], vcc
	s_xor_b64 s[10:11], exec, s[10:11]
; %bb.221:                              ;   in Loop: Header=BB23_59 Depth=2
	v_add_f64 v[28:29], v[26:27], -v[2:3]
	v_mul_f64 v[34:35], v[28:29], 0.5
; %bb.222:                              ;   in Loop: Header=BB23_59 Depth=2
	s_andn2_saveexec_b64 s[10:11], s[10:11]
; %bb.223:                              ;   in Loop: Header=BB23_59 Depth=2
	v_add_f64 v[28:29], v[8:9], -v[2:3]
	v_mul_f64 v[34:35], v[28:29], 0.5
; %bb.224:                              ;   in Loop: Header=BB23_59 Depth=2
	s_or_b64 exec, exec, s[10:11]
.LBB23_225:                             ;   in Loop: Header=BB23_59 Depth=2
	s_or_b64 exec, exec, s[8:9]
	v_pk_mov_b32 v[30:31], 0, 0
	s_and_b64 vcc, exec, s[4:5]
	v_pk_mov_b32 v[36:37], v[30:31], v[30:31] op_sel:[0,1]
	v_pk_mov_b32 v[38:39], v[30:31], v[30:31] op_sel:[0,1]
	s_cbranch_vccnz .LBB23_229
; %bb.226:                              ;   in Loop: Header=BB23_59 Depth=2
	v_pk_mov_b32 v[30:31], 0, 0
	s_mov_b64 s[8:9], s[30:31]
	v_pk_mov_b32 v[28:29], v[24:25], v[24:25] op_sel:[0,1]
	s_mov_b32 s6, s72
	v_pk_mov_b32 v[36:37], v[30:31], v[30:31] op_sel:[0,1]
	v_pk_mov_b32 v[38:39], v[30:31], v[30:31] op_sel:[0,1]
.LBB23_227:                             ;   Parent Loop BB23_4 Depth=1
                                        ;     Parent Loop BB23_59 Depth=2
                                        ; =>    This Inner Loop Header: Depth=3
	global_load_dwordx2 v[32:33], v[28:29], off
	s_add_i32 s6, s6, -1
	s_waitcnt vmcnt(0)
	v_add_f64 v[32:33], v[32:33], -v[34:35]
	global_store_dwordx2 v[28:29], v[32:33], off
	global_load_dwordx2 v[40:41], v13, s[8:9]
	v_add_co_u32_e32 v28, vcc, 8, v28
	v_addc_co_u32_e32 v29, vcc, 0, v29, vcc
	s_add_u32 s8, s8, 8
	s_addc_u32 s9, s9, 0
	s_cmp_eq_u32 s6, 0
	s_waitcnt vmcnt(0)
	v_div_scale_f64 v[42:43], s[10:11], v[32:33], v[32:33], v[40:41]
	v_rcp_f64_e32 v[44:45], v[42:43]
	v_div_scale_f64 v[46:47], vcc, v[40:41], v[32:33], v[40:41]
	v_fma_f64 v[48:49], -v[42:43], v[44:45], 1.0
	v_fmac_f64_e32 v[44:45], v[44:45], v[48:49]
	v_fma_f64 v[48:49], -v[42:43], v[44:45], 1.0
	v_fmac_f64_e32 v[44:45], v[44:45], v[48:49]
	v_mul_f64 v[48:49], v[46:47], v[44:45]
	v_fma_f64 v[42:43], -v[42:43], v[48:49], v[46:47]
	v_div_fmas_f64 v[42:43], v[42:43], v[44:45], v[48:49]
	v_div_fixup_f64 v[32:33], v[42:43], v[32:33], v[40:41]
	v_fmac_f64_e32 v[38:39], v[40:41], v[32:33]
	v_fmac_f64_e32 v[30:31], v[32:33], v[32:33]
	v_add_f64 v[36:37], v[36:37], v[38:39]
	s_cbranch_scc0 .LBB23_227
; %bb.228:                              ;   in Loop: Header=BB23_59 Depth=2
	global_load_dwordx2 v[32:33], v[6:7], off offset:-8
.LBB23_229:                             ;   in Loop: Header=BB23_59 Depth=2
	s_waitcnt vmcnt(0)
	v_add_f64 v[28:29], v[32:33], -v[34:35]
	global_store_dwordx2 v[6:7], v[28:29], off offset:-8
	global_load_dwordx2 v[32:33], v13, s[78:79] offset:-8
	v_add_f64 v[2:3], v[2:3], v[34:35]
	v_add_f64 v[42:43], v[16:17], v[38:39]
	s_waitcnt vmcnt(0)
	v_div_scale_f64 v[34:35], s[8:9], v[28:29], v[28:29], v[32:33]
	v_rcp_f64_e32 v[40:41], v[34:35]
	v_div_scale_f64 v[44:45], vcc, v[32:33], v[28:29], v[32:33]
	v_fma_f64 v[46:47], -v[34:35], v[40:41], 1.0
	v_fmac_f64_e32 v[40:41], v[40:41], v[46:47]
	v_fma_f64 v[46:47], -v[34:35], v[40:41], 1.0
	v_fmac_f64_e32 v[40:41], v[40:41], v[46:47]
	v_mul_f64 v[46:47], v[44:45], v[40:41]
	v_fma_f64 v[34:35], -v[34:35], v[46:47], v[44:45]
	v_div_fmas_f64 v[34:35], v[34:35], v[40:41], v[46:47]
	v_div_fixup_f64 v[34:35], v[34:35], v[28:29], v[32:33]
	v_fma_f64 v[40:41], v[32:33], v[34:35], 0
	v_add_f64 v[38:39], v[38:39], v[40:41]
	v_fma_f64 v[44:45], v[34:35], v[34:35], v[30:31]
	v_ldexp_f64 v[38:39], -v[38:39], 3
	v_fma_f64 v[38:39], |v[2:3]|, v[44:45], v[38:39]
	v_add_f64 v[38:39], v[38:39], -v[40:41]
	v_add_f64 v[36:37], |v[36:37]|, v[40:41]
	v_add_f64 v[38:39], v[16:17], v[38:39]
	v_add_f64 v[36:37], v[36:37], v[38:39]
	;; [unrolled: 1-line block ×3, first 2 shown]
	v_mul_f64 v[36:37], v[36:37], s[26:27]
	v_cmp_nle_f64_e64 s[8:9], |v[32:33]|, v[36:37]
	s_and_saveexec_b64 s[10:11], s[8:9]
	s_cbranch_execz .LBB23_249
; %bb.230:                              ;   in Loop: Header=BB23_59 Depth=2
	v_mul_f64 v[34:35], v[34:35], v[34:35]
	s_mov_b32 s23, 1
	s_mov_b64 s[16:17], 0
	s_branch .LBB23_232
.LBB23_231:                             ;   in Loop: Header=BB23_232 Depth=3
	s_waitcnt vmcnt(0)
	v_add_f64 v[28:29], v[28:29], -v[34:35]
	global_store_dwordx2 v[6:7], v[28:29], off offset:-8
	global_load_dwordx2 v[38:39], v13, s[78:79] offset:-8
	v_add_f64 v[2:3], v[2:3], v[34:35]
	v_add_f64 v[40:41], v[16:17], v[36:37]
	s_add_i32 s6, s23, 1
	s_cmp_gt_u32 s23, 48
	s_mov_b32 s23, s6
	s_waitcnt vmcnt(0)
	v_div_scale_f64 v[34:35], s[8:9], v[28:29], v[28:29], v[38:39]
	v_rcp_f64_e32 v[42:43], v[34:35]
	v_div_scale_f64 v[44:45], vcc, v[38:39], v[28:29], v[38:39]
	s_cselect_b64 s[8:9], -1, 0
	v_fma_f64 v[46:47], -v[34:35], v[42:43], 1.0
	v_fmac_f64_e32 v[42:43], v[42:43], v[46:47]
	v_fma_f64 v[46:47], -v[34:35], v[42:43], 1.0
	v_fmac_f64_e32 v[42:43], v[42:43], v[46:47]
	v_mul_f64 v[46:47], v[44:45], v[42:43]
	v_fma_f64 v[34:35], -v[34:35], v[46:47], v[44:45]
	v_div_fmas_f64 v[34:35], v[34:35], v[42:43], v[46:47]
	v_div_fixup_f64 v[42:43], v[34:35], v[28:29], v[38:39]
	v_fma_f64 v[38:39], v[38:39], v[42:43], 0
	v_add_f64 v[36:37], v[36:37], v[38:39]
	v_mul_f64 v[34:35], v[42:43], v[42:43]
	v_fma_f64 v[42:43], v[42:43], v[42:43], v[30:31]
	v_ldexp_f64 v[36:37], -v[36:37], 3
	v_fma_f64 v[36:37], |v[2:3]|, v[42:43], v[36:37]
	v_add_f64 v[36:37], v[36:37], -v[38:39]
	v_add_f64 v[44:45], |v[32:33]|, v[38:39]
	v_add_f64 v[36:37], v[16:17], v[36:37]
	v_add_f64 v[32:33], v[40:41], v[38:39]
	;; [unrolled: 1-line block ×3, first 2 shown]
	v_and_b32_e32 v41, 0x7fffffff, v33
	v_mov_b32_e32 v40, v32
	v_mul_f64 v[36:37], v[36:37], s[26:27]
	v_cmp_le_f64_e32 vcc, v[40:41], v[36:37]
	s_or_b64 s[8:9], s[8:9], vcc
	s_and_b64 s[8:9], exec, s[8:9]
	s_or_b64 s[16:17], s[8:9], s[16:17]
	s_andn2_b64 exec, exec, s[16:17]
	s_cbranch_execz .LBB23_248
.LBB23_232:                             ;   Parent Loop BB23_4 Depth=1
                                        ;     Parent Loop BB23_59 Depth=2
                                        ; =>    This Loop Header: Depth=3
                                        ;         Child Loop BB23_246 Depth 4
	global_load_dwordx2 v[38:39], v[6:7], off offset:-16
	v_add_f64 v[36:37], v[34:35], v[30:31]
	s_waitcnt vmcnt(0)
	v_fma_f64 v[30:31], -v[30:31], v[38:39], v[32:33]
	v_add_f64 v[42:43], v[28:29], v[38:39]
	v_mul_f64 v[38:39], v[28:29], v[38:39]
	v_fma_f64 v[40:41], -v[28:29], v[34:35], v[30:31]
	v_mul_f64 v[30:31], v[36:37], v[38:39]
	v_mul_f64 v[38:39], v[32:33], v[38:39]
	v_mul_f64 v[34:35], v[38:39], -4.0
	v_fma_f64 v[30:31], v[32:33], v[42:43], -v[30:31]
	v_mul_f64 v[34:35], v[34:35], v[40:41]
	v_fmac_f64_e32 v[34:35], v[30:31], v[30:31]
	v_cmp_lt_f64_e64 vcc, |v[34:35]|, s[24:25]
	v_cndmask_b32_e64 v1, 0, 1, vcc
	v_lshlrev_b32_e32 v1, 8, v1
	v_ldexp_f64 v[34:35], |v[34:35]|, v1
	v_rsq_f64_e32 v[42:43], v[34:35]
	v_cndmask_b32_e32 v1, 0, v67, vcc
	v_cmp_class_f64_e32 vcc, v[34:35], v66
	v_mul_f64 v[44:45], v[34:35], v[42:43]
	v_mul_f64 v[42:43], v[42:43], 0.5
	v_fma_f64 v[46:47], -v[42:43], v[44:45], 0.5
	v_fmac_f64_e32 v[44:45], v[44:45], v[46:47]
	v_fmac_f64_e32 v[42:43], v[42:43], v[46:47]
	v_fma_f64 v[46:47], -v[44:45], v[44:45], v[34:35]
	v_fmac_f64_e32 v[44:45], v[46:47], v[42:43]
	v_fma_f64 v[46:47], -v[44:45], v[44:45], v[34:35]
	v_fmac_f64_e32 v[44:45], v[46:47], v[42:43]
	v_ldexp_f64 v[42:43], v[44:45], v1
	v_cndmask_b32_e32 v43, v43, v35, vcc
	v_cndmask_b32_e32 v42, v42, v34, vcc
	v_cmp_le_f64_e32 vcc, 0, v[30:31]
                                        ; implicit-def: $vgpr34_vgpr35
	s_and_saveexec_b64 s[8:9], vcc
	s_xor_b64 s[8:9], exec, s[8:9]
	s_cbranch_execz .LBB23_234
; %bb.233:                              ;   in Loop: Header=BB23_232 Depth=3
	v_add_f64 v[30:31], v[30:31], v[42:43]
	v_add_f64 v[34:35], v[40:41], v[40:41]
	v_div_scale_f64 v[38:39], s[44:45], v[34:35], v[34:35], v[30:31]
	v_rcp_f64_e32 v[40:41], v[38:39]
	v_fma_f64 v[42:43], -v[38:39], v[40:41], 1.0
	v_fmac_f64_e32 v[40:41], v[40:41], v[42:43]
	v_fma_f64 v[42:43], -v[38:39], v[40:41], 1.0
	v_fmac_f64_e32 v[40:41], v[40:41], v[42:43]
	v_div_scale_f64 v[42:43], vcc, v[30:31], v[34:35], v[30:31]
	v_mul_f64 v[44:45], v[42:43], v[40:41]
	v_fma_f64 v[38:39], -v[38:39], v[44:45], v[42:43]
                                        ; implicit-def: $vgpr42_vgpr43
	s_nop 1
	v_div_fmas_f64 v[38:39], v[38:39], v[40:41], v[44:45]
	v_div_fixup_f64 v[34:35], v[38:39], v[34:35], v[30:31]
                                        ; implicit-def: $vgpr38_vgpr39
                                        ; implicit-def: $vgpr30_vgpr31
.LBB23_234:                             ;   in Loop: Header=BB23_232 Depth=3
	s_andn2_saveexec_b64 s[8:9], s[8:9]
	s_cbranch_execz .LBB23_236
; %bb.235:                              ;   in Loop: Header=BB23_232 Depth=3
	v_add_f64 v[34:35], v[38:39], v[38:39]
	v_add_f64 v[30:31], v[30:31], -v[42:43]
	v_div_scale_f64 v[38:39], s[44:45], v[30:31], v[30:31], v[34:35]
	v_rcp_f64_e32 v[40:41], v[38:39]
	v_fma_f64 v[42:43], -v[38:39], v[40:41], 1.0
	v_fmac_f64_e32 v[40:41], v[40:41], v[42:43]
	v_fma_f64 v[42:43], -v[38:39], v[40:41], 1.0
	v_fmac_f64_e32 v[40:41], v[40:41], v[42:43]
	v_div_scale_f64 v[42:43], vcc, v[34:35], v[30:31], v[34:35]
	v_mul_f64 v[44:45], v[42:43], v[40:41]
	v_fma_f64 v[38:39], -v[38:39], v[44:45], v[42:43]
	s_nop 1
	v_div_fmas_f64 v[38:39], v[38:39], v[40:41], v[44:45]
	v_div_fixup_f64 v[34:35], v[38:39], v[30:31], v[34:35]
.LBB23_236:                             ;   in Loop: Header=BB23_232 Depth=3
	s_or_b64 exec, exec, s[8:9]
	v_mul_f64 v[30:31], v[32:33], v[34:35]
	v_cmp_lt_f64_e32 vcc, 0, v[30:31]
	s_and_saveexec_b64 s[8:9], vcc
; %bb.237:                              ;   in Loop: Header=BB23_232 Depth=3
	v_div_scale_f64 v[30:31], s[44:45], v[36:37], v[36:37], -v[32:33]
	v_rcp_f64_e32 v[34:35], v[30:31]
	v_div_scale_f64 v[38:39], vcc, -v[32:33], v[36:37], -v[32:33]
	v_fma_f64 v[40:41], -v[30:31], v[34:35], 1.0
	v_fmac_f64_e32 v[34:35], v[34:35], v[40:41]
	v_fma_f64 v[40:41], -v[30:31], v[34:35], 1.0
	v_fmac_f64_e32 v[34:35], v[34:35], v[40:41]
	v_mul_f64 v[40:41], v[38:39], v[34:35]
	v_fma_f64 v[30:31], -v[30:31], v[40:41], v[38:39]
	v_div_fmas_f64 v[30:31], v[30:31], v[34:35], v[40:41]
	v_div_fixup_f64 v[34:35], v[30:31], v[36:37], -v[32:33]
; %bb.238:                              ;   in Loop: Header=BB23_232 Depth=3
	s_or_b64 exec, exec, s[8:9]
	v_cmp_lt_f64_e32 vcc, v[26:27], v[2:3]
	v_cndmask_b32_e32 v1, v26, v2, vcc
	v_cndmask_b32_e32 v30, v27, v3, vcc
	v_cmp_nge_f64_e32 vcc, 0, v[32:33]
	v_cndmask_b32_e32 v27, v30, v27, vcc
	v_cndmask_b32_e32 v26, v1, v26, vcc
	v_cmp_lt_f64_e32 vcc, 0, v[32:33]
	v_cmp_lt_f64_e64 s[8:9], v[2:3], v[8:9]
	s_and_b64 vcc, vcc, s[8:9]
	v_cndmask_b32_e32 v9, v9, v3, vcc
	v_cndmask_b32_e32 v8, v8, v2, vcc
	v_add_f64 v[30:31], v[2:3], v[34:35]
	v_cmp_gt_f64_e32 vcc, v[30:31], v[8:9]
	v_cmp_lt_f64_e64 s[8:9], v[30:31], v[26:27]
	s_or_b64 s[44:45], vcc, s[8:9]
	s_and_saveexec_b64 s[8:9], s[44:45]
	s_cbranch_execz .LBB23_244
; %bb.239:                              ;   in Loop: Header=BB23_232 Depth=3
	v_cmp_ngt_f64_e32 vcc, 0, v[32:33]
                                        ; implicit-def: $vgpr34_vgpr35
	s_and_saveexec_b64 s[44:45], vcc
	s_xor_b64 s[44:45], exec, s[44:45]
; %bb.240:                              ;   in Loop: Header=BB23_232 Depth=3
	v_add_f64 v[30:31], v[26:27], -v[2:3]
	v_mul_f64 v[34:35], v[30:31], 0.5
; %bb.241:                              ;   in Loop: Header=BB23_232 Depth=3
	s_andn2_saveexec_b64 s[44:45], s[44:45]
; %bb.242:                              ;   in Loop: Header=BB23_232 Depth=3
	v_add_f64 v[30:31], v[8:9], -v[2:3]
	v_mul_f64 v[34:35], v[30:31], 0.5
; %bb.243:                              ;   in Loop: Header=BB23_232 Depth=3
	s_or_b64 exec, exec, s[44:45]
.LBB23_244:                             ;   in Loop: Header=BB23_232 Depth=3
	s_or_b64 exec, exec, s[8:9]
	v_pk_mov_b32 v[30:31], 0, 0
	s_and_b64 vcc, exec, s[4:5]
	v_pk_mov_b32 v[32:33], v[30:31], v[30:31] op_sel:[0,1]
	v_pk_mov_b32 v[36:37], v[30:31], v[30:31] op_sel:[0,1]
	s_cbranch_vccnz .LBB23_231
; %bb.245:                              ;   in Loop: Header=BB23_232 Depth=3
	v_pk_mov_b32 v[30:31], 0, 0
	s_mov_b64 s[8:9], s[30:31]
	v_pk_mov_b32 v[28:29], v[24:25], v[24:25] op_sel:[0,1]
	s_mov_b32 s6, s72
	v_pk_mov_b32 v[32:33], v[30:31], v[30:31] op_sel:[0,1]
	v_pk_mov_b32 v[36:37], v[30:31], v[30:31] op_sel:[0,1]
.LBB23_246:                             ;   Parent Loop BB23_4 Depth=1
                                        ;     Parent Loop BB23_59 Depth=2
                                        ;       Parent Loop BB23_232 Depth=3
                                        ; =>      This Inner Loop Header: Depth=4
	global_load_dwordx2 v[38:39], v[28:29], off
	s_add_i32 s6, s6, -1
	s_waitcnt vmcnt(0)
	v_add_f64 v[38:39], v[38:39], -v[34:35]
	global_store_dwordx2 v[28:29], v[38:39], off
	global_load_dwordx2 v[40:41], v13, s[8:9]
	v_add_co_u32_e32 v28, vcc, 8, v28
	v_addc_co_u32_e32 v29, vcc, 0, v29, vcc
	s_add_u32 s8, s8, 8
	s_addc_u32 s9, s9, 0
	s_cmp_eq_u32 s6, 0
	s_waitcnt vmcnt(0)
	v_div_scale_f64 v[42:43], s[44:45], v[38:39], v[38:39], v[40:41]
	v_rcp_f64_e32 v[44:45], v[42:43]
	v_div_scale_f64 v[46:47], vcc, v[40:41], v[38:39], v[40:41]
	v_fma_f64 v[48:49], -v[42:43], v[44:45], 1.0
	v_fmac_f64_e32 v[44:45], v[44:45], v[48:49]
	v_fma_f64 v[48:49], -v[42:43], v[44:45], 1.0
	v_fmac_f64_e32 v[44:45], v[44:45], v[48:49]
	v_mul_f64 v[48:49], v[46:47], v[44:45]
	v_fma_f64 v[42:43], -v[42:43], v[48:49], v[46:47]
	v_div_fmas_f64 v[42:43], v[42:43], v[44:45], v[48:49]
	v_div_fixup_f64 v[38:39], v[42:43], v[38:39], v[40:41]
	v_fmac_f64_e32 v[36:37], v[40:41], v[38:39]
	v_fmac_f64_e32 v[30:31], v[38:39], v[38:39]
	v_add_f64 v[32:33], v[32:33], v[36:37]
	s_cbranch_scc0 .LBB23_246
; %bb.247:                              ;   in Loop: Header=BB23_232 Depth=3
	global_load_dwordx2 v[28:29], v[6:7], off offset:-8
	s_branch .LBB23_231
.LBB23_248:                             ;   in Loop: Header=BB23_59 Depth=2
	s_or_b64 exec, exec, s[16:17]
.LBB23_249:                             ;   in Loop: Header=BB23_59 Depth=2
	s_or_b64 exec, exec, s[10:11]
.LBB23_250:                             ;   in Loop: Header=BB23_59 Depth=2
	s_or_b64 exec, exec, s[14:15]
	v_add_f64 v[6:7], v[4:5], v[2:3]
	s_or_b64 exec, exec, s[12:13]
	global_store_dwordx2 v[22:23], v[6:7], off
	s_and_b64 exec, exec, s[2:3]
	s_cbranch_execz .LBB23_58
.LBB23_251:                             ;   in Loop: Header=BB23_59 Depth=2
	v_xor_b32_e32 v7, 0x80000000, v7
	global_store_dwordx2 v[22:23], v[6:7], off
	s_branch .LBB23_58
.LBB23_252:                             ;   in Loop: Header=BB23_4 Depth=1
	s_or_b64 exec, exec, s[70:71]
; %bb.253:                              ;   in Loop: Header=BB23_4 Depth=1
	s_barrier
	s_and_saveexec_b64 s[2:3], s[0:1]
	v_readlane_b32 s33, v80, 51
	s_cbranch_execz .LBB23_2
; %bb.254:                              ;   in Loop: Header=BB23_4 Depth=1
	s_add_u32 s4, s41, s68
	s_addc_u32 s5, s42, s69
	v_readlane_b32 s0, v80, 9
	s_add_u32 s0, s0, s62
	v_readlane_b32 s1, v80, 11
	s_addc_u32 s1, s1, s63
	s_add_u32 s6, s0, 8
	s_addc_u32 s16, s1, 0
	v_readlane_b32 s0, v80, 53
	s_add_u32 s8, s0, 8
	v_readlane_b32 s0, v80, 54
	s_addc_u32 s9, s0, 0
	s_mov_b64 s[10:11], 0
	v_mov_b32_e32 v12, v0
	s_branch .LBB23_257
.LBB23_255:                             ;   in Loop: Header=BB23_257 Depth=2
	v_mov_b32_e32 v2, 0
	v_mov_b32_e32 v3, 0x3ff00000
.LBB23_256:                             ;   in Loop: Header=BB23_257 Depth=2
	v_lshlrev_b64 v[4:5], 3, v[12:13]
	v_mov_b32_e32 v1, s31
	v_add_co_u32_e32 v4, vcc, s30, v4
	v_addc_co_u32_e32 v5, vcc, v1, v5, vcc
	global_load_dwordx2 v[6:7], v[4:5], off
	v_cmp_lt_f64_e64 vcc, |v[2:3]|, s[24:25]
	v_cndmask_b32_e64 v1, 0, 1, vcc
	v_lshlrev_b32_e32 v1, 8, v1
	v_ldexp_f64 v[2:3], |v[2:3]|, v1
	v_rsq_f64_e32 v[8:9], v[2:3]
	v_cndmask_b32_e32 v1, 0, v67, vcc
	v_cmp_class_f64_e64 s[0:1], v[2:3], v66
	v_add_u32_e32 v12, s35, v12
	v_mul_f64 v[14:15], v[2:3], v[8:9]
	v_mul_f64 v[8:9], v[8:9], 0.5
	v_fma_f64 v[16:17], -v[8:9], v[14:15], 0.5
	v_fmac_f64_e32 v[14:15], v[14:15], v[16:17]
	v_fmac_f64_e32 v[8:9], v[8:9], v[16:17]
	v_fma_f64 v[16:17], -v[14:15], v[14:15], v[2:3]
	v_fmac_f64_e32 v[14:15], v[16:17], v[8:9]
	v_fma_f64 v[16:17], -v[14:15], v[14:15], v[2:3]
	v_fmac_f64_e32 v[14:15], v[16:17], v[8:9]
	v_ldexp_f64 v[8:9], v[14:15], v1
	v_cndmask_b32_e64 v1, v9, v3, s[0:1]
	v_cmp_le_i32_e32 vcc, s60, v12
	v_cndmask_b32_e64 v2, v8, v2, s[0:1]
	v_xor_b32_e32 v3, 0x80000000, v1
	s_or_b64 s[10:11], vcc, s[10:11]
	s_waitcnt vmcnt(0)
	v_cmp_gt_f64_e64 s[0:1], 0, v[6:7]
	v_cndmask_b32_e64 v3, v1, v3, s[0:1]
	global_store_dwordx2 v[4:5], v[2:3], off
	s_andn2_b64 exec, exec, s[10:11]
	s_cbranch_execz .LBB23_2
.LBB23_257:                             ;   Parent Loop BB23_4 Depth=1
                                        ; =>  This Loop Header: Depth=2
                                        ;       Child Loop BB23_261 Depth 3
	s_andn2_b64 vcc, exec, s[58:59]
	s_cbranch_vccnz .LBB23_255
; %bb.258:                              ;   in Loop: Header=BB23_257 Depth=2
	v_lshlrev_b64 v[2:3], 2, v[12:13]
	v_mov_b32_e32 v1, s16
	v_add_co_u32_e32 v4, vcc, s6, v2
	v_addc_co_u32_e32 v5, vcc, v1, v3, vcc
	v_mov_b32_e32 v2, 0
	s_mov_b32 s17, 0
	v_mov_b32_e32 v3, 0x3ff00000
	s_mov_b64 s[0:1], s[4:5]
	s_mov_b64 s[12:13], s[8:9]
	v_mov_b32_e32 v6, v12
	s_branch .LBB23_261
.LBB23_259:                             ;   in Loop: Header=BB23_261 Depth=3
	s_or_b64 exec, exec, s[14:15]
	s_waitcnt vmcnt(0)
	v_mul_f64 v[2:3], v[2:3], v[8:9]
.LBB23_260:                             ;   in Loop: Header=BB23_261 Depth=3
	s_add_i32 s17, s17, 1
	s_add_u32 s12, s12, 4
	s_addc_u32 s13, s13, 0
	s_add_u32 s0, s0, 8
	s_addc_u32 s1, s1, 0
	s_cmp_eq_u32 s29, s17
	v_add_u32_e32 v6, s34, v6
	s_cbranch_scc1 .LBB23_256
.LBB23_261:                             ;   Parent Loop BB23_4 Depth=1
                                        ;     Parent Loop BB23_257 Depth=2
                                        ; =>    This Inner Loop Header: Depth=3
	global_load_dword v1, v13, s[12:13]
	s_waitcnt vmcnt(0)
	v_cmp_ne_u32_e32 vcc, 1, v1
	s_cbranch_vccnz .LBB23_260
; %bb.262:                              ;   in Loop: Header=BB23_261 Depth=3
	v_ashrrev_i32_e32 v7, 31, v6
	v_lshlrev_b64 v[8:9], 3, v[6:7]
	v_mov_b32_e32 v1, s40
	v_add_co_u32_e32 v8, vcc, s20, v8
	v_addc_co_u32_e32 v9, vcc, v1, v9, vcc
	global_load_dword v14, v[4:5], off
	s_nop 0
	global_load_dwordx2 v[8:9], v[8:9], off
	s_waitcnt vmcnt(1)
	v_cmp_ne_u32_e32 vcc, s17, v14
	s_and_saveexec_b64 s[14:15], vcc
	s_cbranch_execz .LBB23_259
; %bb.263:                              ;   in Loop: Header=BB23_261 Depth=3
	v_ashrrev_i32_e32 v15, 31, v14
	v_lshlrev_b64 v[14:15], 3, v[14:15]
	v_mov_b32_e32 v1, s5
	v_add_co_u32_e32 v14, vcc, s4, v14
	v_addc_co_u32_e32 v15, vcc, v1, v15, vcc
	global_load_dwordx2 v[16:17], v13, s[0:1]
	s_nop 0
	global_load_dwordx2 v[14:15], v[14:15], off
	s_waitcnt vmcnt(0)
	v_add_f64 v[14:15], v[14:15], -v[16:17]
	v_div_scale_f64 v[16:17], s[22:23], v[14:15], v[14:15], v[8:9]
	v_rcp_f64_e32 v[18:19], v[16:17]
	v_div_scale_f64 v[20:21], vcc, v[8:9], v[14:15], v[8:9]
	v_fma_f64 v[22:23], -v[16:17], v[18:19], 1.0
	v_fmac_f64_e32 v[18:19], v[18:19], v[22:23]
	v_fma_f64 v[22:23], -v[16:17], v[18:19], 1.0
	v_fmac_f64_e32 v[18:19], v[18:19], v[22:23]
	v_mul_f64 v[22:23], v[20:21], v[18:19]
	v_fma_f64 v[16:17], -v[16:17], v[22:23], v[20:21]
	v_div_fmas_f64 v[16:17], v[16:17], v[18:19], v[22:23]
	v_div_fixup_f64 v[8:9], v[16:17], v[14:15], v[8:9]
	s_branch .LBB23_259
.LBB23_264:
	s_endpgm
	.section	.rodata,"a",@progbits
	.p2align	6, 0x0
	.amdhsa_kernel _ZN9rocsolver6v33100L25stedcx_mergeValues_kernelIdEEviiPT_lS3_lS3_S3_PiS2_S2_S2_
		.amdhsa_group_segment_fixed_size 0
		.amdhsa_private_segment_fixed_size 0
		.amdhsa_kernarg_size 344
		.amdhsa_user_sgpr_count 6
		.amdhsa_user_sgpr_private_segment_buffer 1
		.amdhsa_user_sgpr_dispatch_ptr 0
		.amdhsa_user_sgpr_queue_ptr 0
		.amdhsa_user_sgpr_kernarg_segment_ptr 1
		.amdhsa_user_sgpr_dispatch_id 0
		.amdhsa_user_sgpr_flat_scratch_init 0
		.amdhsa_user_sgpr_kernarg_preload_length 0
		.amdhsa_user_sgpr_kernarg_preload_offset 0
		.amdhsa_user_sgpr_private_segment_size 0
		.amdhsa_uses_dynamic_stack 0
		.amdhsa_system_sgpr_private_segment_wavefront_offset 0
		.amdhsa_system_sgpr_workgroup_id_x 1
		.amdhsa_system_sgpr_workgroup_id_y 1
		.amdhsa_system_sgpr_workgroup_id_z 1
		.amdhsa_system_sgpr_workgroup_info 0
		.amdhsa_system_vgpr_workitem_id 0
		.amdhsa_next_free_vgpr 81
		.amdhsa_next_free_sgpr 96
		.amdhsa_accum_offset 84
		.amdhsa_reserve_vcc 1
		.amdhsa_reserve_flat_scratch 0
		.amdhsa_float_round_mode_32 0
		.amdhsa_float_round_mode_16_64 0
		.amdhsa_float_denorm_mode_32 3
		.amdhsa_float_denorm_mode_16_64 3
		.amdhsa_dx10_clamp 1
		.amdhsa_ieee_mode 1
		.amdhsa_fp16_overflow 0
		.amdhsa_tg_split 0
		.amdhsa_exception_fp_ieee_invalid_op 0
		.amdhsa_exception_fp_denorm_src 0
		.amdhsa_exception_fp_ieee_div_zero 0
		.amdhsa_exception_fp_ieee_overflow 0
		.amdhsa_exception_fp_ieee_underflow 0
		.amdhsa_exception_fp_ieee_inexact 0
		.amdhsa_exception_int_div_zero 0
	.end_amdhsa_kernel
	.section	.text._ZN9rocsolver6v33100L25stedcx_mergeValues_kernelIdEEviiPT_lS3_lS3_S3_PiS2_S2_S2_,"axG",@progbits,_ZN9rocsolver6v33100L25stedcx_mergeValues_kernelIdEEviiPT_lS3_lS3_S3_PiS2_S2_S2_,comdat
.Lfunc_end23:
	.size	_ZN9rocsolver6v33100L25stedcx_mergeValues_kernelIdEEviiPT_lS3_lS3_S3_PiS2_S2_S2_, .Lfunc_end23-_ZN9rocsolver6v33100L25stedcx_mergeValues_kernelIdEEviiPT_lS3_lS3_S3_PiS2_S2_S2_
                                        ; -- End function
	.section	.AMDGPU.csdata,"",@progbits
; Kernel info:
; codeLenInByte = 16016
; NumSgprs: 100
; NumVgprs: 81
; NumAgprs: 0
; TotalNumVgprs: 81
; ScratchSize: 0
; MemoryBound: 1
; FloatMode: 240
; IeeeMode: 1
; LDSByteSize: 0 bytes/workgroup (compile time only)
; SGPRBlocks: 12
; VGPRBlocks: 10
; NumSGPRsForWavesPerEU: 100
; NumVGPRsForWavesPerEU: 81
; AccumOffset: 84
; Occupancy: 5
; WaveLimiterHint : 1
; COMPUTE_PGM_RSRC2:SCRATCH_EN: 0
; COMPUTE_PGM_RSRC2:USER_SGPR: 6
; COMPUTE_PGM_RSRC2:TRAP_HANDLER: 0
; COMPUTE_PGM_RSRC2:TGID_X_EN: 1
; COMPUTE_PGM_RSRC2:TGID_Y_EN: 1
; COMPUTE_PGM_RSRC2:TGID_Z_EN: 1
; COMPUTE_PGM_RSRC2:TIDIG_COMP_CNT: 0
; COMPUTE_PGM_RSRC3_GFX90A:ACCUM_OFFSET: 20
; COMPUTE_PGM_RSRC3_GFX90A:TG_SPLIT: 0
	.section	.text._ZN9rocsolver6v33100L26stedcx_mergeVectors_kernelILb0EdEEviiPT0_lS3_lS3_iilS3_S3_Pi,"axG",@progbits,_ZN9rocsolver6v33100L26stedcx_mergeVectors_kernelILb0EdEEviiPT0_lS3_lS3_iilS3_S3_Pi,comdat
	.globl	_ZN9rocsolver6v33100L26stedcx_mergeVectors_kernelILb0EdEEviiPT0_lS3_lS3_iilS3_S3_Pi ; -- Begin function _ZN9rocsolver6v33100L26stedcx_mergeVectors_kernelILb0EdEEviiPT0_lS3_lS3_iilS3_S3_Pi
	.p2align	8
	.type	_ZN9rocsolver6v33100L26stedcx_mergeVectors_kernelILb0EdEEviiPT0_lS3_lS3_iilS3_S3_Pi,@function
_ZN9rocsolver6v33100L26stedcx_mergeVectors_kernelILb0EdEEviiPT0_lS3_lS3_iilS3_S3_Pi: ; @_ZN9rocsolver6v33100L26stedcx_mergeVectors_kernelILb0EdEEviiPT0_lS3_lS3_iilS3_S3_Pi
; %bb.0:
	s_load_dwordx4 s[20:23], s[4:5], 0x28
	s_load_dwordx8 s[12:19], s[4:5], 0x38
	s_mov_b32 s10, s7
	s_waitcnt lgkmcnt(0)
	s_cmp_eq_u64 s[20:21], 0
	s_cbranch_scc1 .LBB24_2
; %bb.1:
	s_ashr_i32 s2, s8, 31
	s_mul_i32 s3, s8, s13
	s_mul_hi_u32 s7, s8, s12
	s_add_i32 s3, s7, s3
	s_mul_i32 s2, s2, s12
	s_add_i32 s3, s3, s2
	s_mul_i32 s2, s8, s12
	s_ashr_i32 s1, s22, 31
	s_lshl_b64 s[2:3], s[2:3], 3
	s_mov_b32 s0, s22
	s_add_u32 s2, s20, s2
	s_addc_u32 s3, s21, s3
	s_lshl_b64 s[0:1], s[0:1], 3
	s_add_u32 s12, s2, s0
	s_addc_u32 s13, s3, s1
	s_branch .LBB24_3
.LBB24_2:
                                        ; implicit-def: $sgpr12_sgpr13
.LBB24_3:
	s_load_dwordx2 s[20:21], s[4:5], 0x0
	s_waitcnt lgkmcnt(0)
	s_mul_i32 s0, s21, 5
	s_add_i32 s0, s0, 2
	s_mul_i32 s0, s0, s8
	s_ashr_i32 s1, s0, 31
	s_lshl_b64 s[2:3], s[0:1], 2
	s_add_u32 s7, s18, s2
	s_addc_u32 s22, s19, s3
	s_ashr_i32 s27, s21, 31
	s_mov_b32 s26, s21
	s_lshl_b64 s[0:1], s[26:27], 2
	s_add_u32 s24, s7, s0
	s_addc_u32 s25, s22, s1
	s_load_dword s33, s[24:25], 0x4
	s_waitcnt lgkmcnt(0)
	s_cmp_ge_i32 s10, s33
	s_cbranch_scc1 .LBB24_60
; %bb.4:
	s_add_u32 s36, s24, s0
	s_addc_u32 s37, s25, s1
	s_add_u32 s38, s36, s0
	s_load_dword s11, s[4:5], 0x64
	s_addc_u32 s39, s37, s1
	s_lshl_b32 s0, s8, 1
	s_mul_i32 s8, s21, s21
	s_mul_i32 s4, s0, s21
	;; [unrolled: 1-line block ×3, first 2 shown]
	s_ashr_i32 s1, s0, 31
	s_ashr_i32 s5, s4, 31
	s_lshl_b64 s[28:29], s[0:1], 3
	s_add_u32 s40, s16, s28
	s_addc_u32 s41, s17, s29
	s_waitcnt lgkmcnt(0)
	s_and_b32 s42, 0xffff, s11
	s_lshl_b32 s43, 2, s20
	s_not_b32 s44, s20
	s_ashr_i32 s45, s6, 31
	s_abs_i32 s46, s6
	s_add_u32 s47, s38, 8
	s_addc_u32 s48, s39, 0
	s_mul_i32 s31, s26, 12
	s_mul_hi_i32 s30, s26, 12
	s_add_u32 s31, s31, s2
	s_addc_u32 s30, s30, s3
	s_add_u32 s31, s31, s18
	s_addc_u32 s30, s30, s19
	s_mov_b32 s9, 0
	s_add_u32 s49, s31, 8
	s_addc_u32 s50, s30, 0
	s_lshl_b64 s[30:31], s[8:9], 3
	s_add_u32 s8, s28, s30
	s_addc_u32 s28, s29, s31
	s_add_u32 s51, s16, s8
	s_addc_u32 s52, s17, s28
	s_lshl_b32 s53, s42, 3
	s_lshl_b64 s[4:5], s[4:5], 3
	s_add_u32 s4, s14, s4
	v_lshlrev_b32_e32 v2, 3, v0
	s_addc_u32 s5, s15, s5
	v_cvt_f32_u32_e32 v4, s43
	v_mov_b32_e32 v3, s5
	v_add_co_u32_e32 v14, vcc, s4, v2
	s_lshl_b64 s[4:5], s[26:27], 4
	s_add_u32 s2, s4, s2
	s_addc_u32 s3, s5, s3
	s_add_u32 s2, s18, s2
	v_rcp_iflag_f32_e32 v4, v4
	v_add_u32_e32 v1, 0, v2
	v_addc_co_u32_e32 v15, vcc, 0, v3, vcc
	v_lshlrev_b32_e32 v2, 2, v0
	s_addc_u32 s3, s19, s3
	v_mov_b32_e32 v3, s3
	v_add_co_u32_e32 v2, vcc, s2, v2
	v_addc_co_u32_e32 v3, vcc, 0, v3, vcc
	v_add_co_u32_e32 v16, vcc, 8, v2
	v_mul_f32_e32 v2, 0x4f7ffffe, v4
	v_cvt_u32_f32_e32 v18, v2
	s_mov_b32 s14, 0
	v_cmp_eq_u32_e64 s[0:1], 0, v0
	s_mov_b32 s54, s9
	v_addc_co_u32_e32 v17, vcc, 0, v3, vcc
	s_lshl_b32 s55, s42, 2
	s_mov_b32 s56, s9
	s_brev_b32 s15, 8
	v_mov_b32_e32 v19, 0x260
	v_mov_b32_e32 v20, 0
	v_cmp_gt_u16_e64 s[16:17], s11, 1
                                        ; implicit-def: $vgpr2_vgpr3
	s_branch .LBB24_6
.LBB24_5:                               ;   in Loop: Header=BB24_6 Depth=1
	s_add_i32 s10, s10, 8
	s_cmp_ge_i32 s10, s33
	s_cbranch_scc1 .LBB24_60
.LBB24_6:                               ; =>This Loop Header: Depth=1
                                        ;     Child Loop BB24_15 Depth 2
                                        ;     Child Loop BB24_22 Depth 2
	;; [unrolled: 1-line block ×7, first 2 shown]
                                        ;       Child Loop BB24_48 Depth 3
                                        ;       Child Loop BB24_51 Depth 3
	s_ashr_i32 s11, s10, 31
	s_lshl_b64 s[2:3], s[10:11], 2
	s_add_u32 s2, s7, s2
	s_addc_u32 s3, s22, s3
	s_barrier
	s_load_dwordx2 s[2:3], s[2:3], 0x0
	s_mov_b32 s57, 0
	s_waitcnt lgkmcnt(0)
	s_sub_i32 s3, s3, s2
	s_cmp_lt_i32 s3, 3
	s_cbranch_scc1 .LBB24_11
; %bb.7:                                ;   in Loop: Header=BB24_6 Depth=1
	s_cmp_lt_u32 s3, 5
	s_mov_b32 s57, 1
	s_cbranch_scc1 .LBB24_11
; %bb.8:                                ;   in Loop: Header=BB24_6 Depth=1
	s_cmp_lt_u32 s3, 33
	s_mov_b32 s57, 2
	s_cbranch_scc1 .LBB24_11
; %bb.9:                                ;   in Loop: Header=BB24_6 Depth=1
	s_cmpk_lt_u32 s3, 0xe9
	s_mov_b32 s57, 4
	s_cbranch_scc1 .LBB24_11
; %bb.10:                               ;   in Loop: Header=BB24_6 Depth=1
	s_cmpk_lt_u32 s3, 0x128
	s_cselect_b32 s4, 5, 7
	s_cmpk_lt_u32 s3, 0x79b
	s_cselect_b32 s57, s4, 8
.LBB24_11:                              ;   in Loop: Header=BB24_6 Depth=1
	s_lshl_b32 s4, 1, s57
	v_cvt_f32_u32_e32 v4, s4
	s_add_i32 s3, s3, -1
	s_ashr_i32 s58, s3, 31
	s_add_i32 s3, s3, s58
	v_rcp_iflag_f32_e32 v4, v4
	s_sub_i32 s5, 0, s4
	s_xor_b32 s59, s3, s58
	v_mul_f32_e32 v4, 0x4f7ffffe, v4
	v_cvt_u32_f32_e32 v4, v4
	v_readfirstlane_b32 s3, v4
	s_mul_i32 s5, s5, s3
	s_mul_hi_u32 s5, s3, s5
	s_add_i32 s3, s3, s5
	s_mul_hi_u32 s3, s59, s3
	s_mul_i32 s8, s3, s4
	s_sub_i32 s8, s59, s8
	s_add_i32 s5, s3, 1
	s_sub_i32 s11, s8, s4
	s_cmp_ge_u32 s8, s4
	s_cselect_b32 s3, s5, s3
	s_cselect_b32 s8, s11, s8
	s_add_i32 s5, s3, 1
	s_cmp_ge_u32 s8, s4
	s_cselect_b32 s3, s5, s3
	s_xor_b32 s3, s3, s58
	s_sub_i32 s61, s3, s58
	s_add_i32 s61, s61, 1
	s_lshl_b32 s3, s61, s57
	s_cmp_ge_i32 s6, s3
	s_cselect_b64 s[4:5], -1, 0
	s_cmp_le_i32 s57, s20
	s_cselect_b64 s[18:19], -1, 0
	s_or_b64 s[4:5], s[18:19], s[4:5]
	s_and_b64 vcc, exec, s[4:5]
	s_cbranch_vccnz .LBB24_5
; %bb.12:                               ;   in Loop: Header=BB24_6 Depth=1
	s_ashr_i32 s3, s2, 31
	s_lshl_b64 s[2:3], s[2:3], 2
	s_add_u32 s8, s24, s2
	s_addc_u32 s60, s25, s3
	s_add_u32 s11, s36, s2
	s_addc_u32 s28, s37, s3
	s_abs_i32 s2, s61
	v_cvt_f32_u32_e32 v4, s2
	s_sub_i32 s4, 0, s2
	s_ashr_i32 s3, s61, 31
	s_xor_b32 s3, s45, s3
	v_rcp_iflag_f32_e32 v4, v4
	v_readfirstlane_b32 s18, v18
	v_mul_f32_e32 v4, 0x4f7ffffe, v4
	v_cvt_u32_f32_e32 v4, v4
	v_readfirstlane_b32 s5, v4
	s_mul_i32 s4, s4, s5
	s_mul_hi_u32 s4, s5, s4
	s_add_i32 s5, s5, s4
	s_mul_hi_u32 s4, s46, s5
	s_mul_i32 s5, s4, s2
	s_sub_i32 s5, s46, s5
	s_add_i32 s19, s4, 1
	s_sub_i32 s26, s5, s2
	s_cmp_ge_u32 s5, s2
	s_cselect_b32 s4, s19, s4
	s_cselect_b32 s5, s26, s5
	s_add_i32 s19, s4, 1
	s_cmp_ge_u32 s5, s2
	s_cselect_b32 s2, s19, s4
	s_xor_b32 s2, s2, s3
	s_sub_i32 s2, s2, s3
	s_ashr_i32 s3, s2, 31
	s_lshl_b64 s[4:5], s[2:3], 2
	s_add_u32 s26, s11, s4
	s_addc_u32 s27, s28, s5
	s_sub_i32 s29, 0, s43
	s_mul_i32 s29, s29, s18
	s_add_i32 s19, s2, s3
	s_mul_hi_u32 s29, s18, s29
	s_xor_b32 s19, s19, s3
	s_add_i32 s18, s18, s29
	s_mul_hi_u32 s18, s19, s18
	s_mul_i32 s18, s18, s43
	s_sub_i32 s18, s19, s18
	s_sub_i32 s19, s18, s43
	s_cmp_ge_u32 s18, s43
	s_cselect_b32 s18, s19, s18
	s_sub_i32 s19, s18, s43
	s_cmp_ge_u32 s18, s43
	s_cselect_b32 s18, s19, s18
	s_xor_b32 s18, s18, s3
	s_sub_i32 s3, s18, s3
	s_sub_i32 s30, s2, s3
	s_ashr_i32 s31, s30, 31
	s_lshl_b64 s[18:19], s[30:31], 2
	s_add_u32 s18, s11, s18
	s_addc_u32 s19, s28, s19
	s_add_u32 s28, s8, s4
	s_addc_u32 s29, s60, s5
	s_load_dword s11, s[28:29], 0x8
	s_add_u32 s4, s28, 8
	s_addc_u32 s5, s29, 0
	s_cmp_lt_i32 s3, 1
	s_cbranch_scc1 .LBB24_19
; %bb.13:                               ;   in Loop: Header=BB24_6 Depth=1
	s_mov_b64 s[34:35], -1
	s_cmp_eq_u32 s3, 1
	s_mov_b32 s31, 1
	s_cbranch_scc1 .LBB24_17
; %bb.14:                               ;   in Loop: Header=BB24_6 Depth=1
	s_and_b32 s34, s3, 0x7ffffffe
	s_add_u32 s62, s8, 8
	s_addc_u32 s63, s60, 0
	s_mov_b32 s35, 0
	s_mov_b32 s64, s34
.LBB24_15:                              ;   Parent Loop BB24_6 Depth=1
                                        ; =>  This Inner Loop Header: Depth=2
	s_ashr_i32 s31, s30, 31
	s_lshl_b64 s[66:67], s[30:31], 2
	s_add_u32 s66, s62, s66
	s_addc_u32 s67, s63, s67
	s_load_dwordx2 s[66:67], s[66:67], 0x0
	s_add_i32 s30, s30, 2
	s_add_i32 s64, s64, -2
	s_waitcnt lgkmcnt(0)
	s_add_i32 s35, s67, s35
	s_add_i32 s11, s66, s11
	s_cmp_lg_u32 s64, 0
	s_cbranch_scc1 .LBB24_15
; %bb.16:                               ;   in Loop: Header=BB24_6 Depth=1
	s_and_b32 s31, s3, 1
	s_add_i32 s11, s11, s35
	s_cmp_lg_u32 s3, s34
	s_cselect_b64 s[34:35], -1, 0
.LBB24_17:                              ;   in Loop: Header=BB24_6 Depth=1
	s_and_b64 vcc, exec, s[34:35]
	s_cbranch_vccz .LBB24_19
; %bb.18:                               ;   in Loop: Header=BB24_6 Depth=1
	s_sub_i32 s30, s2, s31
	s_ashr_i32 s31, s30, 31
	s_lshl_b64 s[30:31], s[30:31], 2
	s_add_u32 s30, s8, s30
	s_addc_u32 s31, s60, s31
	s_load_dword s8, s[30:31], 0x8
	s_waitcnt lgkmcnt(0)
	s_add_i32 s11, s8, s11
.LBB24_19:                              ;   in Loop: Header=BB24_6 Depth=1
	s_not_b32 s8, s3
	s_add_i32 s30, s43, s8
	s_cmp_lt_i32 s30, 1
	s_cbranch_scc1 .LBB24_26
; %bb.20:                               ;   in Loop: Header=BB24_6 Depth=1
	s_mov_b64 s[34:35], -1
	s_cmp_eq_u32 s30, 1
	s_mov_b32 s3, 1
	s_cbranch_scc1 .LBB24_24
; %bb.21:                               ;   in Loop: Header=BB24_6 Depth=1
	s_and_b32 s3, s8, 1
	s_add_u32 s8, s4, -4
	s_addc_u32 s35, s5, -1
	s_mov_b32 s34, 0
.LBB24_22:                              ;   Parent Loop BB24_6 Depth=1
                                        ; =>  This Inner Loop Header: Depth=2
	s_ashr_i32 s31, s30, 31
	s_lshl_b64 s[62:63], s[30:31], 2
	s_add_u32 s62, s8, s62
	s_addc_u32 s63, s35, s63
	s_load_dwordx2 s[62:63], s[62:63], 0x0
	s_add_i32 s30, s30, -2
	s_waitcnt lgkmcnt(0)
	s_add_i32 s34, s62, s34
	s_add_i32 s11, s63, s11
	s_cmp_lg_u32 s3, s30
	s_cbranch_scc1 .LBB24_22
; %bb.23:                               ;   in Loop: Header=BB24_6 Depth=1
	s_add_i32 s11, s11, s34
	s_cmp_lg_u32 s3, 0
	s_cselect_b64 s[34:35], -1, 0
.LBB24_24:                              ;   in Loop: Header=BB24_6 Depth=1
	s_and_b64 vcc, exec, s[34:35]
	s_cbranch_vccz .LBB24_26
; %bb.25:                               ;   in Loop: Header=BB24_6 Depth=1
	s_lshl_b32 s3, s3, 2
	s_load_dword s3, s[28:29], s3 offset:0x8
	s_waitcnt lgkmcnt(0)
	s_add_i32 s11, s3, s11
.LBB24_26:                              ;   in Loop: Header=BB24_6 Depth=1
	s_load_dword s18, s[18:19], 0x8
	s_nop 0
	s_load_dword s3, s[26:27], 0x8
	s_waitcnt lgkmcnt(0)
	s_ashr_i32 s19, s18, 31
	s_cmp_lt_i32 s11, 1
	s_cbranch_scc1 .LBB24_31
; %bb.27:                               ;   in Loop: Header=BB24_6 Depth=1
	s_cmp_lg_u32 s11, 1
	s_cbranch_scc0 .LBB24_32
; %bb.28:                               ;   in Loop: Header=BB24_6 Depth=1
	s_lshl_b64 s[26:27], s[18:19], 2
	s_add_u32 s26, s38, s26
	s_addc_u32 s27, s39, s27
	s_and_b32 s8, s11, 0x7ffffffe
	s_add_u32 s26, s26, 8
	s_addc_u32 s27, s27, 0
	s_mov_b32 s28, 0
	s_mov_b32 s29, s8
	;; [unrolled: 1-line block ×3, first 2 shown]
.LBB24_29:                              ;   Parent Loop BB24_6 Depth=1
                                        ; =>  This Inner Loop Header: Depth=2
	s_load_dwordx2 s[34:35], s[26:27], 0x0
	s_waitcnt lgkmcnt(0)
	s_cmp_eq_u32 s34, 1
	s_cselect_b64 s[62:63], -1, 0
	s_cmp_eq_u32 s35, 1
	s_cselect_b64 s[34:35], -1, 0
	s_cmp_lg_u64 s[34:35], 0
	s_addc_u32 s30, s30, 0
	s_cmp_lg_u64 s[62:63], 0
	s_addc_u32 s28, s28, 0
	s_add_u32 s26, s26, 8
	s_addc_u32 s27, s27, 0
	s_add_i32 s29, s29, -2
	s_cmp_lg_u32 s29, 0
	s_cbranch_scc1 .LBB24_29
; %bb.30:                               ;   in Loop: Header=BB24_6 Depth=1
	s_add_i32 s60, s28, s30
	s_cmp_lg_u32 s11, s8
	s_cselect_b64 s[26:27], -1, 0
	s_and_b64 vcc, exec, s[26:27]
	s_cbranch_vccnz .LBB24_33
	s_branch .LBB24_35
.LBB24_31:                              ;   in Loop: Header=BB24_6 Depth=1
	s_mov_b32 s60, 0
	s_branch .LBB24_35
.LBB24_32:                              ;   in Loop: Header=BB24_6 Depth=1
	s_mov_b32 s60, 0
	s_mov_b32 s8, 0
	s_cbranch_execz .LBB24_35
.LBB24_33:                              ;   in Loop: Header=BB24_6 Depth=1
	s_sub_i32 s28, s11, s8
	s_lshl_b64 s[26:27], s[18:19], 2
	s_lshl_b64 s[30:31], s[8:9], 2
	s_add_u32 s8, s26, s30
	s_addc_u32 s27, s27, s31
	s_add_u32 s26, s49, s8
	s_addc_u32 s27, s50, s27
.LBB24_34:                              ;   Parent Loop BB24_6 Depth=1
                                        ; =>  This Inner Loop Header: Depth=2
	s_load_dword s8, s[26:27], 0x0
	s_waitcnt lgkmcnt(0)
	s_cmp_eq_u32 s8, 1
	s_cselect_b64 s[30:31], -1, 0
	s_cmp_lg_u64 s[30:31], 0
	s_addc_u32 s60, s60, 0
	s_add_i32 s28, s28, -1
	s_add_u32 s26, s26, 4
	s_addc_u32 s27, s27, 0
	s_cmp_eq_u32 s28, 0
	s_cbranch_scc0 .LBB24_34
.LBB24_35:                              ;   in Loop: Header=BB24_6 Depth=1
	s_barrier
	s_load_dword s4, s[4:5], 0x0
	s_mul_i32 s2, s2, s61
	s_sub_i32 s2, s6, s2
	s_waitcnt lgkmcnt(0)
	s_cmp_lt_i32 s2, s4
	s_cbranch_scc0 .LBB24_5
; %bb.36:                               ;   in Loop: Header=BB24_6 Depth=1
	s_add_i32 s4, s2, s3
	s_ashr_i32 s5, s4, 31
	s_lshl_b64 s[2:3], s[4:5], 2
	s_add_u32 s26, s47, s2
	s_addc_u32 s27, s48, s3
	s_load_dword s2, s[26:27], 0x0
	v_cmp_gt_i32_e32 vcc, s60, v0
	s_waitcnt lgkmcnt(0)
	s_cmp_lg_u32 s2, 1
	s_cbranch_scc1 .LBB24_43
; %bb.37:                               ;   in Loop: Header=BB24_6 Depth=1
	v_pk_mov_b32 v[2:3], 0, 0
	s_and_saveexec_b64 s[28:29], vcc
	s_cbranch_execz .LBB24_41
; %bb.38:                               ;   in Loop: Header=BB24_6 Depth=1
	s_mul_i32 s2, s4, s21
	v_add_u32_e32 v2, s2, v0
	v_ashrrev_i32_e32 v3, 31, v2
	v_lshlrev_b64 v[2:3], 3, v[2:3]
	v_mov_b32_e32 v5, s52
	v_add_co_u32_e32 v4, vcc, s51, v2
	v_addc_co_u32_e32 v5, vcc, v5, v3, vcc
	s_lshl_b64 s[2:3], s[18:19], 3
	v_mov_b32_e32 v2, s3
	v_add_co_u32_e32 v6, vcc, s2, v14
	v_addc_co_u32_e32 v7, vcc, v15, v2, vcc
	s_mov_b64 s[30:31], 0
	v_pk_mov_b32 v[2:3], 0, 0
	s_mov_b64 s[34:35], 0
	v_mov_b32_e32 v8, v0
.LBB24_39:                              ;   Parent Loop BB24_6 Depth=1
                                        ; =>  This Inner Loop Header: Depth=2
	v_mov_b32_e32 v9, s35
	v_add_co_u32_e64 v12, s[2:3], s34, v6
	v_add_co_u32_e32 v10, vcc, s34, v4
	v_addc_co_u32_e64 v13, s[2:3], v7, v9, s[2:3]
	v_addc_co_u32_e32 v11, vcc, v5, v9, vcc
	global_load_dwordx2 v[12:13], v[12:13], off
	s_nop 0
	global_load_dwordx2 v[22:23], v[10:11], off
	v_add_u32_e32 v8, s42, v8
	s_add_u32 s34, s34, s53
	s_addc_u32 s35, s35, 0
	v_cmp_le_i32_e32 vcc, s60, v8
	s_or_b64 s[30:31], vcc, s[30:31]
	s_waitcnt vmcnt(0)
	v_div_scale_f64 v[24:25], s[2:3], v[22:23], v[22:23], v[12:13]
	v_rcp_f64_e32 v[26:27], v[24:25]
	v_div_scale_f64 v[28:29], vcc, v[12:13], v[22:23], v[12:13]
	v_fma_f64 v[30:31], -v[24:25], v[26:27], 1.0
	v_fmac_f64_e32 v[26:27], v[26:27], v[30:31]
	v_fma_f64 v[30:31], -v[24:25], v[26:27], 1.0
	v_fmac_f64_e32 v[26:27], v[26:27], v[30:31]
	v_mul_f64 v[30:31], v[28:29], v[26:27]
	v_fma_f64 v[24:25], -v[24:25], v[30:31], v[28:29]
	v_div_fmas_f64 v[24:25], v[24:25], v[26:27], v[30:31]
	v_div_fixup_f64 v[12:13], v[24:25], v[22:23], v[12:13]
	v_fmac_f64_e32 v[2:3], v[12:13], v[12:13]
	global_store_dwordx2 v[10:11], v[12:13], off
	s_andn2_b64 exec, exec, s[30:31]
	s_cbranch_execnz .LBB24_39
; %bb.40:                               ;   in Loop: Header=BB24_6 Depth=1
	s_or_b64 exec, exec, s[30:31]
.LBB24_41:                              ;   in Loop: Header=BB24_6 Depth=1
	s_or_b64 exec, exec, s[28:29]
	s_andn2_b64 vcc, exec, s[16:17]
	s_mov_b32 s5, s42
	ds_write_b64 v1, v[2:3]
	s_waitcnt lgkmcnt(0)
	s_barrier
	s_cbranch_vccz .LBB24_58
.LBB24_42:                              ;   in Loop: Header=BB24_6 Depth=1
	ds_read_b64 v[2:3], v20
	s_load_dword s2, s[26:27], 0x0
	s_waitcnt lgkmcnt(0)
	v_cmp_gt_f64_e32 vcc, s[14:15], v[2:3]
	v_cndmask_b32_e64 v4, 0, 1, vcc
	v_lshlrev_b32_e32 v4, 8, v4
	v_ldexp_f64 v[2:3], v[2:3], v4
	v_rsq_f64_e32 v[4:5], v[2:3]
	s_and_b64 s[26:27], vcc, exec
	s_cselect_b32 s3, 0xffffff80, 0
	v_cmp_class_f64_e32 vcc, v[2:3], v19
	v_mul_f64 v[6:7], v[2:3], v[4:5]
	v_mul_f64 v[4:5], v[4:5], 0.5
	v_fma_f64 v[8:9], -v[4:5], v[6:7], 0.5
	v_fmac_f64_e32 v[6:7], v[6:7], v[8:9]
	v_fmac_f64_e32 v[4:5], v[4:5], v[8:9]
	v_fma_f64 v[8:9], -v[6:7], v[6:7], v[2:3]
	v_fmac_f64_e32 v[6:7], v[8:9], v[4:5]
	v_fma_f64 v[8:9], -v[6:7], v[6:7], v[2:3]
	v_fmac_f64_e32 v[6:7], v[8:9], v[4:5]
	v_ldexp_f64 v[4:5], v[6:7], s3
	v_cndmask_b32_e32 v3, v5, v3, vcc
	v_cndmask_b32_e32 v2, v4, v2, vcc
.LBB24_43:                              ;   in Loop: Header=BB24_6 Depth=1
	s_add_i32 s3, s57, s44
	s_lshl_b32 s3, 1, s3
	s_ashr_i32 s5, s3, 31
	s_add_i32 s3, s3, s5
	s_xor_b32 s3, s3, s5
	v_cvt_f32_u32_e32 v4, s3
	s_sub_i32 s8, 0, s3
	v_rcp_iflag_f32_e32 v4, v4
	v_mul_f32_e32 v4, 0x4f7ffffe, v4
	v_cvt_u32_f32_e32 v4, v4
	v_readfirstlane_b32 s26, v4
	s_mul_i32 s8, s8, s26
	s_mul_hi_u32 s8, s26, s8
	s_add_i32 s26, s26, s8
	s_mul_hi_u32 s8, s59, s26
	s_mul_i32 s27, s8, s3
	s_sub_i32 s27, s59, s27
	s_add_i32 s26, s8, 1
	s_sub_i32 s28, s27, s3
	s_cmp_ge_u32 s27, s3
	s_cselect_b32 s8, s26, s8
	s_cselect_b32 s27, s28, s27
	s_add_i32 s26, s8, 1
	s_cmp_ge_u32 s27, s3
	s_cselect_b32 s3, s26, s8
	s_xor_b32 s5, s58, s5
	s_xor_b32 s3, s3, s5
	s_sub_i32 s8, s3, s5
	s_cmp_lg_u32 s2, 1
	s_cselect_b64 s[2:3], -1, 0
	s_cmp_lt_i32 s8, 0
	s_cselect_b64 s[26:27], -1, 0
	s_or_b64 s[2:3], s[2:3], s[26:27]
	s_and_b64 vcc, exec, s[2:3]
	s_cbranch_vccnz .LBB24_5
; %bb.44:                               ;   in Loop: Header=BB24_6 Depth=1
	s_mul_i32 s34, s4, s21
	v_add_u32_e32 v4, s34, v0
	v_ashrrev_i32_e32 v5, 31, v4
	v_lshlrev_b64 v[4:5], 3, v[4:5]
	v_mov_b32_e32 v6, s52
	v_add_co_u32_e32 v4, vcc, s51, v4
	v_addc_co_u32_e32 v5, vcc, v6, v5, vcc
	s_lshl_b64 s[4:5], s[18:19], 2
	v_mov_b32_e32 v7, s5
	v_add_co_u32_e32 v6, vcc, s4, v16
	v_cmp_gt_i32_e64 s[2:3], s60, v0
	v_addc_co_u32_e32 v7, vcc, v17, v7, vcc
	s_mov_b32 s19, 0
	s_branch .LBB24_46
.LBB24_45:                              ;   in Loop: Header=BB24_46 Depth=2
	s_or_b64 exec, exec, s[4:5]
	s_add_i32 s4, s19, 1
	s_cmp_lg_u32 s19, s8
	s_mov_b32 s19, s4
	s_barrier
	s_cbranch_scc0 .LBB24_5
.LBB24_46:                              ;   Parent Loop BB24_6 Depth=1
                                        ; =>  This Loop Header: Depth=2
                                        ;       Child Loop BB24_48 Depth 3
                                        ;       Child Loop BB24_51 Depth 3
	s_add_i32 s35, s19, s18
	s_cmp_lt_i32 s19, s11
	s_cselect_b64 s[26:27], -1, 0
	s_and_b64 s[4:5], s[26:27], s[2:3]
	v_pk_mov_b32 v[8:9], 0, 0
	s_and_saveexec_b64 s[28:29], s[4:5]
	s_cbranch_execz .LBB24_50
; %bb.47:                               ;   in Loop: Header=BB24_46 Depth=2
	s_mov_b64 s[30:31], 0
	v_pk_mov_b32 v[8:9], 0, 0
	v_pk_mov_b32 v[10:11], v[6:7], v[6:7] op_sel:[0,1]
	v_pk_mov_b32 v[12:13], v[4:5], v[4:5] op_sel:[0,1]
	v_mov_b32_e32 v21, v0
.LBB24_48:                              ;   Parent Loop BB24_6 Depth=1
                                        ;     Parent Loop BB24_46 Depth=2
                                        ; =>    This Inner Loop Header: Depth=3
	global_load_dword v24, v[10:11], off
	v_mov_b32_e32 v26, s13
	global_load_dwordx2 v[22:23], v[12:13], off
	v_mov_b32_e32 v27, s56
	v_add_u32_e32 v21, s42, v21
	v_add_co_u32_e64 v12, s[4:5], s53, v12
	s_waitcnt vmcnt(1)
	v_add_u32_e32 v24, s18, v24
	v_mul_lo_u32 v24, v24, s23
	v_add_u32_e32 v24, s35, v24
	v_ashrrev_i32_e32 v25, 31, v24
	v_lshlrev_b64 v[24:25], 3, v[24:25]
	v_add_co_u32_e32 v24, vcc, s12, v24
	v_addc_co_u32_e32 v25, vcc, v26, v25, vcc
	flat_load_dwordx2 v[24:25], v[24:25]
	v_add_co_u32_e32 v10, vcc, s55, v10
	v_addc_co_u32_e32 v11, vcc, v11, v27, vcc
	v_mov_b32_e32 v26, s54
	v_cmp_le_i32_e32 vcc, s60, v21
	v_addc_co_u32_e64 v13, s[4:5], v13, v26, s[4:5]
	s_or_b64 s[30:31], vcc, s[30:31]
	s_waitcnt vmcnt(0) lgkmcnt(0)
	v_fmac_f64_e32 v[8:9], v[24:25], v[22:23]
	s_andn2_b64 exec, exec, s[30:31]
	s_cbranch_execnz .LBB24_48
; %bb.49:                               ;   in Loop: Header=BB24_46 Depth=2
	s_or_b64 exec, exec, s[30:31]
.LBB24_50:                              ;   in Loop: Header=BB24_46 Depth=2
	s_or_b64 exec, exec, s[28:29]
	s_andn2_b64 vcc, exec, s[16:17]
	s_mov_b32 s28, s42
	ds_write_b64 v1, v[8:9]
	s_waitcnt lgkmcnt(0)
	s_barrier
	s_cbranch_vccnz .LBB24_55
.LBB24_51:                              ;   Parent Loop BB24_6 Depth=1
                                        ;     Parent Loop BB24_46 Depth=2
                                        ; =>    This Inner Loop Header: Depth=3
	s_lshr_b32 s29, s28, 1
	v_cmp_gt_u32_e32 vcc, s29, v0
	s_and_b64 s[30:31], s[26:27], vcc
	s_and_saveexec_b64 s[4:5], s[30:31]
	s_cbranch_execz .LBB24_53
; %bb.52:                               ;   in Loop: Header=BB24_51 Depth=3
	v_lshl_add_u32 v10, s29, 3, v1
	ds_read_b64 v[10:11], v10
	s_waitcnt lgkmcnt(0)
	v_add_f64 v[8:9], v[8:9], v[10:11]
	ds_write_b64 v1, v[8:9]
.LBB24_53:                              ;   in Loop: Header=BB24_51 Depth=3
	s_or_b64 exec, exec, s[4:5]
	s_cmp_lt_u32 s28, 4
	s_waitcnt lgkmcnt(0)
	s_barrier
	s_cbranch_scc1 .LBB24_55
; %bb.54:                               ;   in Loop: Header=BB24_51 Depth=3
	s_mov_b32 s28, s29
	s_branch .LBB24_51
.LBB24_55:                              ;   in Loop: Header=BB24_46 Depth=2
	s_and_b64 s[26:27], s[0:1], s[26:27]
	s_and_saveexec_b64 s[4:5], s[26:27]
	s_cbranch_execz .LBB24_45
; %bb.56:                               ;   in Loop: Header=BB24_46 Depth=2
	v_div_scale_f64 v[10:11], s[26:27], v[2:3], v[2:3], v[8:9]
	v_rcp_f64_e32 v[12:13], v[10:11]
	v_div_scale_f64 v[22:23], vcc, v[8:9], v[2:3], v[8:9]
	s_add_i32 s26, s35, s34
	v_fma_f64 v[24:25], -v[10:11], v[12:13], 1.0
	v_fmac_f64_e32 v[12:13], v[12:13], v[24:25]
	v_fma_f64 v[24:25], -v[10:11], v[12:13], 1.0
	v_fmac_f64_e32 v[12:13], v[12:13], v[24:25]
	v_mul_f64 v[24:25], v[22:23], v[12:13]
	s_ashr_i32 s27, s26, 31
	v_fma_f64 v[10:11], -v[10:11], v[24:25], v[22:23]
	s_lshl_b64 s[26:27], s[26:27], 3
	v_div_fmas_f64 v[10:11], v[10:11], v[12:13], v[24:25]
	s_add_u32 s26, s40, s26
	v_div_fixup_f64 v[8:9], v[10:11], v[2:3], v[8:9]
	s_addc_u32 s27, s41, s27
	global_store_dwordx2 v20, v[8:9], s[26:27]
	s_branch .LBB24_45
.LBB24_57:                              ;   in Loop: Header=BB24_58 Depth=2
	s_or_b64 exec, exec, s[2:3]
	s_cmp_lt_u32 s5, 4
	s_mov_b32 s5, s8
	s_waitcnt lgkmcnt(0)
	s_barrier
	s_cbranch_scc1 .LBB24_42
.LBB24_58:                              ;   Parent Loop BB24_6 Depth=1
                                        ; =>  This Inner Loop Header: Depth=2
	s_lshr_b32 s8, s5, 1
	v_cmp_gt_u32_e32 vcc, s8, v0
	s_and_saveexec_b64 s[2:3], vcc
	s_cbranch_execz .LBB24_57
; %bb.59:                               ;   in Loop: Header=BB24_58 Depth=2
	v_lshl_add_u32 v4, s8, 3, v1
	ds_read_b64 v[4:5], v4
	s_waitcnt lgkmcnt(0)
	v_add_f64 v[2:3], v[2:3], v[4:5]
	ds_write_b64 v1, v[2:3]
	s_branch .LBB24_57
.LBB24_60:
	s_endpgm
	.section	.rodata,"a",@progbits
	.p2align	6, 0x0
	.amdhsa_kernel _ZN9rocsolver6v33100L26stedcx_mergeVectors_kernelILb0EdEEviiPT0_lS3_lS3_iilS3_S3_Pi
		.amdhsa_group_segment_fixed_size 0
		.amdhsa_private_segment_fixed_size 0
		.amdhsa_kernarg_size 344
		.amdhsa_user_sgpr_count 6
		.amdhsa_user_sgpr_private_segment_buffer 1
		.amdhsa_user_sgpr_dispatch_ptr 0
		.amdhsa_user_sgpr_queue_ptr 0
		.amdhsa_user_sgpr_kernarg_segment_ptr 1
		.amdhsa_user_sgpr_dispatch_id 0
		.amdhsa_user_sgpr_flat_scratch_init 0
		.amdhsa_user_sgpr_kernarg_preload_length 0
		.amdhsa_user_sgpr_kernarg_preload_offset 0
		.amdhsa_user_sgpr_private_segment_size 0
		.amdhsa_uses_dynamic_stack 0
		.amdhsa_system_sgpr_private_segment_wavefront_offset 0
		.amdhsa_system_sgpr_workgroup_id_x 1
		.amdhsa_system_sgpr_workgroup_id_y 1
		.amdhsa_system_sgpr_workgroup_id_z 1
		.amdhsa_system_sgpr_workgroup_info 0
		.amdhsa_system_vgpr_workitem_id 0
		.amdhsa_next_free_vgpr 32
		.amdhsa_next_free_sgpr 68
		.amdhsa_accum_offset 32
		.amdhsa_reserve_vcc 1
		.amdhsa_reserve_flat_scratch 0
		.amdhsa_float_round_mode_32 0
		.amdhsa_float_round_mode_16_64 0
		.amdhsa_float_denorm_mode_32 3
		.amdhsa_float_denorm_mode_16_64 3
		.amdhsa_dx10_clamp 1
		.amdhsa_ieee_mode 1
		.amdhsa_fp16_overflow 0
		.amdhsa_tg_split 0
		.amdhsa_exception_fp_ieee_invalid_op 0
		.amdhsa_exception_fp_denorm_src 0
		.amdhsa_exception_fp_ieee_div_zero 0
		.amdhsa_exception_fp_ieee_overflow 0
		.amdhsa_exception_fp_ieee_underflow 0
		.amdhsa_exception_fp_ieee_inexact 0
		.amdhsa_exception_int_div_zero 0
	.end_amdhsa_kernel
	.section	.text._ZN9rocsolver6v33100L26stedcx_mergeVectors_kernelILb0EdEEviiPT0_lS3_lS3_iilS3_S3_Pi,"axG",@progbits,_ZN9rocsolver6v33100L26stedcx_mergeVectors_kernelILb0EdEEviiPT0_lS3_lS3_iilS3_S3_Pi,comdat
.Lfunc_end24:
	.size	_ZN9rocsolver6v33100L26stedcx_mergeVectors_kernelILb0EdEEviiPT0_lS3_lS3_iilS3_S3_Pi, .Lfunc_end24-_ZN9rocsolver6v33100L26stedcx_mergeVectors_kernelILb0EdEEviiPT0_lS3_lS3_iilS3_S3_Pi
                                        ; -- End function
	.section	.AMDGPU.csdata,"",@progbits
; Kernel info:
; codeLenInByte = 2812
; NumSgprs: 72
; NumVgprs: 32
; NumAgprs: 0
; TotalNumVgprs: 32
; ScratchSize: 0
; MemoryBound: 0
; FloatMode: 240
; IeeeMode: 1
; LDSByteSize: 0 bytes/workgroup (compile time only)
; SGPRBlocks: 8
; VGPRBlocks: 3
; NumSGPRsForWavesPerEU: 72
; NumVGPRsForWavesPerEU: 32
; AccumOffset: 32
; Occupancy: 8
; WaveLimiterHint : 1
; COMPUTE_PGM_RSRC2:SCRATCH_EN: 0
; COMPUTE_PGM_RSRC2:USER_SGPR: 6
; COMPUTE_PGM_RSRC2:TRAP_HANDLER: 0
; COMPUTE_PGM_RSRC2:TGID_X_EN: 1
; COMPUTE_PGM_RSRC2:TGID_Y_EN: 1
; COMPUTE_PGM_RSRC2:TGID_Z_EN: 1
; COMPUTE_PGM_RSRC2:TIDIG_COMP_CNT: 0
; COMPUTE_PGM_RSRC3_GFX90A:ACCUM_OFFSET: 7
; COMPUTE_PGM_RSRC3_GFX90A:TG_SPLIT: 0
	.section	.text._ZN9rocsolver6v33100L25stedcx_mergeUpdate_kernelIdEEviiPT_lS3_iilS3_S3_Pi,"axG",@progbits,_ZN9rocsolver6v33100L25stedcx_mergeUpdate_kernelIdEEviiPT_lS3_iilS3_S3_Pi,comdat
	.globl	_ZN9rocsolver6v33100L25stedcx_mergeUpdate_kernelIdEEviiPT_lS3_iilS3_S3_Pi ; -- Begin function _ZN9rocsolver6v33100L25stedcx_mergeUpdate_kernelIdEEviiPT_lS3_iilS3_S3_Pi
	.p2align	8
	.type	_ZN9rocsolver6v33100L25stedcx_mergeUpdate_kernelIdEEviiPT_lS3_iilS3_S3_Pi,@function
_ZN9rocsolver6v33100L25stedcx_mergeUpdate_kernelIdEEviiPT_lS3_iilS3_S3_Pi: ; @_ZN9rocsolver6v33100L25stedcx_mergeUpdate_kernelIdEEviiPT_lS3_iilS3_S3_Pi
; %bb.0:
	s_load_dwordx4 s[0:3], s[4:5], 0x18
	s_load_dwordx8 s[12:19], s[4:5], 0x28
	s_mov_b32 s10, s7
	s_mov_b64 s[20:21], 0
	s_waitcnt lgkmcnt(0)
	s_cmp_lg_u64 s[0:1], 0
	s_cbranch_scc0 .LBB25_35
; %bb.1:
	s_ashr_i32 s25, s2, 31
	s_mov_b32 s24, s2
	s_ashr_i32 s23, s8, 31
	s_mul_i32 s2, s8, s13
	s_mul_hi_u32 s7, s8, s12
	s_add_i32 s2, s7, s2
	s_mul_i32 s7, s23, s12
	s_add_i32 s13, s2, s7
	s_mul_i32 s12, s8, s12
	s_lshl_b64 s[12:13], s[12:13], 3
	s_add_u32 s2, s0, s12
	s_addc_u32 s7, s1, s13
	s_lshl_b64 s[0:1], s[24:25], 3
	s_add_u32 s12, s2, s0
	s_addc_u32 s13, s7, s1
	s_andn2_b64 vcc, exec, s[20:21]
	s_cbranch_vccnz .LBB25_3
.LBB25_2:
	s_ashr_i32 s23, s8, 31
                                        ; implicit-def: $sgpr12_sgpr13
.LBB25_3:
	s_load_dwordx2 s[20:21], s[4:5], 0x0
	s_waitcnt lgkmcnt(0)
	s_mul_i32 s0, s21, 5
	s_add_i32 s0, s0, 2
	s_mul_i32 s0, s0, s8
	s_ashr_i32 s1, s0, 31
	s_lshl_b64 s[0:1], s[0:1], 2
	s_add_u32 s2, s18, s0
	s_addc_u32 s7, s19, s1
	s_ashr_i32 s1, s21, 31
	s_mov_b32 s0, s21
	s_lshl_b64 s[24:25], s[0:1], 2
	s_add_u32 s18, s2, s24
	s_addc_u32 s19, s7, s25
	s_load_dword s22, s[18:19], 0x4
	s_waitcnt lgkmcnt(0)
	s_cmp_ge_i32 s10, s22
	s_cbranch_scc1 .LBB25_34
; %bb.4:
	s_load_dwordx4 s[28:31], s[4:5], 0x8
	s_load_dword s11, s[4:5], 0x54
	v_mov_b32_e32 v2, 0
	s_waitcnt lgkmcnt(0)
	s_mul_i32 s5, s8, s31
	s_mul_hi_u32 s9, s8, s30
	s_mul_i32 s23, s23, s30
	s_add_i32 s5, s9, s5
	s_mul_i32 s4, s8, s30
	s_add_i32 s5, s5, s23
	s_lshl_b64 s[4:5], s[4:5], 3
	s_add_u32 s23, s28, s4
	s_addc_u32 s26, s29, s5
	s_add_u32 s27, s18, s24
	s_addc_u32 s28, s19, s25
	s_add_u32 s34, s27, s24
	s_mul_i32 s4, s8, s21
	s_addc_u32 s35, s28, s25
	s_lshl_b32 s4, s4, 1
	s_ashr_i32 s5, s4, 31
	s_lshl_b64 s[8:9], s[4:5], 3
	s_add_u32 s5, s14, s8
	s_addc_u32 s8, s15, s9
	s_lshl_b64 s[0:1], s[0:1], 3
	s_add_u32 s24, s5, s0
	s_addc_u32 s25, s8, s1
	s_lshl_b32 s30, 2, s20
	v_cvt_f32_u32_e32 v1, s30
	s_mul_i32 s4, s4, s21
	s_ashr_i32 s5, s4, 31
	s_and_b32 s29, 0xffff, s11
	v_rcp_iflag_f32_e32 v1, v1
	s_ashr_i32 s31, s6, 31
	s_abs_i32 s33, s6
	s_add_u32 s34, s34, 8
	v_mul_f32_e32 v1, 0x4f7ffffe, v1
	v_cvt_u32_f32_e32 v1, v1
	s_addc_u32 s35, s35, 0
	s_lshl_b32 s36, s29, 3
	s_lshl_b64 s[4:5], s[4:5], 3
	s_add_u32 s16, s16, s4
	v_cmp_eq_u32_e64 s[0:1], 0, v0
	s_addc_u32 s17, s17, s5
	s_branch .LBB25_7
.LBB25_5:                               ;   in Loop: Header=BB25_7 Depth=1
	s_or_b64 exec, exec, s[4:5]
.LBB25_6:                               ;   in Loop: Header=BB25_7 Depth=1
	s_add_i32 s10, s10, 8
	s_cmp_ge_i32 s10, s22
	s_cbranch_scc1 .LBB25_34
.LBB25_7:                               ; =>This Loop Header: Depth=1
                                        ;     Child Loop BB25_16 Depth 2
                                        ;     Child Loop BB25_23 Depth 2
	;; [unrolled: 1-line block ×3, first 2 shown]
	s_ashr_i32 s11, s10, 31
	s_lshl_b64 s[4:5], s[10:11], 2
	s_add_u32 s4, s2, s4
	s_addc_u32 s5, s7, s5
	s_barrier
	global_load_dwordx2 v[4:5], v2, s[4:5]
	s_waitcnt vmcnt(0)
	v_readfirstlane_b32 s4, v4
	v_readfirstlane_b32 s5, v5
	s_sub_i32 s8, s5, s4
	s_cmp_lt_i32 s8, 3
	s_mov_b32 s5, 0
	s_cbranch_scc1 .LBB25_12
; %bb.8:                                ;   in Loop: Header=BB25_7 Depth=1
	s_cmp_lt_u32 s8, 5
	s_mov_b32 s5, 1
	s_cbranch_scc1 .LBB25_12
; %bb.9:                                ;   in Loop: Header=BB25_7 Depth=1
	s_cmp_lt_u32 s8, 33
	s_mov_b32 s5, 2
	s_cbranch_scc1 .LBB25_12
; %bb.10:                               ;   in Loop: Header=BB25_7 Depth=1
	s_cmpk_lt_u32 s8, 0xe9
	s_mov_b32 s5, 4
	s_cbranch_scc1 .LBB25_12
; %bb.11:                               ;   in Loop: Header=BB25_7 Depth=1
	s_cmpk_lt_u32 s8, 0x128
	s_cselect_b32 s5, 5, 7
	s_cmpk_lt_u32 s8, 0x79b
	s_cselect_b32 s5, s5, 8
.LBB25_12:                              ;   in Loop: Header=BB25_7 Depth=1
	s_lshl_b32 s9, 1, s5
	v_cvt_f32_u32_e32 v3, s9
	s_add_i32 s8, s8, -1
	s_sub_i32 s14, 0, s9
	s_ashr_i32 s11, s8, 31
	v_rcp_iflag_f32_e32 v3, v3
	s_add_i32 s8, s8, s11
	s_xor_b32 s8, s8, s11
	v_mul_f32_e32 v3, 0x4f7ffffe, v3
	v_cvt_u32_f32_e32 v3, v3
	v_readfirstlane_b32 s15, v3
	s_mul_i32 s14, s14, s15
	s_mul_hi_u32 s14, s15, s14
	s_add_i32 s15, s15, s14
	s_mul_hi_u32 s14, s8, s15
	s_mul_i32 s37, s14, s9
	s_sub_i32 s8, s8, s37
	s_add_i32 s15, s14, 1
	s_sub_i32 s37, s8, s9
	s_cmp_ge_u32 s8, s9
	s_cselect_b32 s14, s15, s14
	s_cselect_b32 s8, s37, s8
	s_add_i32 s15, s14, 1
	s_cmp_ge_u32 s8, s9
	s_cselect_b32 s8, s15, s14
	s_xor_b32 s8, s8, s11
	s_sub_i32 s11, s8, s11
	s_add_i32 s11, s11, 1
	s_lshl_b32 s8, s11, s5
	s_cmp_ge_i32 s6, s8
	s_cselect_b64 s[8:9], -1, 0
	s_cmp_le_i32 s5, s20
	s_cselect_b64 s[14:15], -1, 0
	s_or_b64 s[8:9], s[14:15], s[8:9]
	s_and_b64 vcc, exec, s[8:9]
	s_cbranch_vccnz .LBB25_6
; %bb.13:                               ;   in Loop: Header=BB25_7 Depth=1
	s_ashr_i32 s5, s4, 31
	s_lshl_b64 s[4:5], s[4:5], 2
	s_add_u32 s37, s18, s4
	s_addc_u32 s38, s19, s5
	s_add_u32 s44, s27, s4
	s_addc_u32 s45, s28, s5
	s_abs_i32 s4, s11
	v_cvt_f32_u32_e32 v3, s4
	s_sub_i32 s8, 0, s4
	s_ashr_i32 s5, s11, 31
	s_xor_b32 s5, s31, s5
	v_rcp_iflag_f32_e32 v3, v3
	v_readfirstlane_b32 s14, v1
	v_mul_f32_e32 v3, 0x4f7ffffe, v3
	v_cvt_u32_f32_e32 v3, v3
	v_readfirstlane_b32 s9, v3
	s_mul_i32 s8, s8, s9
	s_mul_hi_u32 s8, s9, s8
	s_add_i32 s9, s9, s8
	s_mul_hi_u32 s8, s33, s9
	s_mul_i32 s9, s8, s4
	s_sub_i32 s9, s33, s9
	s_add_i32 s15, s8, 1
	s_sub_i32 s39, s9, s4
	s_cmp_ge_u32 s9, s4
	s_cselect_b32 s8, s15, s8
	s_cselect_b32 s9, s39, s9
	s_add_i32 s15, s8, 1
	s_cmp_ge_u32 s9, s4
	s_cselect_b32 s4, s15, s8
	s_xor_b32 s4, s4, s5
	s_sub_i32 s4, s4, s5
	s_ashr_i32 s5, s4, 31
	s_lshl_b64 s[8:9], s[4:5], 2
	s_add_u32 s40, s44, s8
	s_addc_u32 s41, s45, s9
	s_sub_i32 s39, 0, s30
	s_mul_i32 s39, s39, s14
	s_add_i32 s15, s4, s5
	s_mul_hi_u32 s39, s14, s39
	s_xor_b32 s15, s15, s5
	s_add_i32 s14, s14, s39
	s_mul_hi_u32 s14, s15, s14
	s_mul_i32 s14, s14, s30
	s_sub_i32 s14, s15, s14
	s_sub_i32 s15, s14, s30
	s_cmp_ge_u32 s14, s30
	s_cselect_b32 s14, s15, s14
	s_sub_i32 s15, s14, s30
	s_cmp_ge_u32 s14, s30
	s_cselect_b32 s14, s15, s14
	s_xor_b32 s14, s14, s5
	s_sub_i32 s39, s14, s5
	s_sub_i32 s14, s4, s39
	s_ashr_i32 s15, s14, 31
	s_lshl_b64 s[42:43], s[14:15], 2
	s_add_u32 s42, s44, s42
	s_addc_u32 s43, s45, s43
	s_add_u32 s8, s37, s8
	s_addc_u32 s9, s38, s9
	global_load_dword v5, v2, s[40:41] offset:8
	global_load_dword v3, v2, s[42:43] offset:8
	;; [unrolled: 1-line block ×3, first 2 shown]
	s_add_u32 s40, s8, 8
	s_addc_u32 s41, s9, 0
	s_cmp_lt_i32 s39, 1
	s_waitcnt vmcnt(0)
	v_readfirstlane_b32 s5, v5
	s_waitcnt vmcnt(0)
	v_mov_b32_e32 v5, v4
	s_cbranch_scc1 .LBB25_20
; %bb.14:                               ;   in Loop: Header=BB25_7 Depth=1
	s_cmp_eq_u32 s39, 1
	s_mov_b32 s43, 1
	s_cbranch_scc1 .LBB25_18
; %bb.15:                               ;   in Loop: Header=BB25_7 Depth=1
	s_and_b32 s42, s39, 0x7ffffffe
	s_add_u32 s43, s37, 8
	s_addc_u32 s44, s38, 0
	v_mov_b32_e32 v5, 0
	s_mov_b32 s45, s42
	v_mov_b32_e32 v6, v4
.LBB25_16:                              ;   Parent Loop BB25_7 Depth=1
                                        ; =>  This Inner Loop Header: Depth=2
	s_ashr_i32 s15, s14, 31
	s_lshl_b64 s[46:47], s[14:15], 2
	s_add_u32 s46, s43, s46
	s_addc_u32 s47, s44, s47
	global_load_dwordx2 v[8:9], v2, s[46:47]
	s_add_i32 s14, s14, 2
	s_add_i32 s45, s45, -2
	s_cmp_lg_u32 s45, 0
	s_waitcnt vmcnt(0)
	v_add_u32_e32 v5, v9, v5
	v_add_u32_e32 v6, v8, v6
	s_cbranch_scc1 .LBB25_16
; %bb.17:                               ;   in Loop: Header=BB25_7 Depth=1
	s_and_b32 s43, s39, 1
	s_cmp_lg_u32 s39, s42
	v_add_u32_e32 v5, v6, v5
	s_cselect_b64 s[14:15], -1, 0
	s_and_b64 vcc, exec, s[14:15]
	s_cbranch_vccnz .LBB25_19
	s_branch .LBB25_20
.LBB25_18:                              ;   in Loop: Header=BB25_7 Depth=1
	v_mov_b32_e32 v5, v4
	s_cbranch_execz .LBB25_20
.LBB25_19:                              ;   in Loop: Header=BB25_7 Depth=1
	s_sub_i32 s14, s4, s43
	s_ashr_i32 s15, s14, 31
	s_lshl_b64 s[14:15], s[14:15], 2
	s_add_u32 s14, s37, s14
	s_addc_u32 s15, s38, s15
	global_load_dword v6, v2, s[14:15] offset:8
	s_waitcnt vmcnt(0)
	v_add_u32_e32 v5, v6, v5
.LBB25_20:                              ;   in Loop: Header=BB25_7 Depth=1
	s_not_b32 s15, s39
	s_add_i32 s14, s30, s15
	s_cmp_lt_i32 s14, 1
	s_cbranch_scc1 .LBB25_27
; %bb.21:                               ;   in Loop: Header=BB25_7 Depth=1
	s_cmp_eq_u32 s14, 1
	s_mov_b32 s37, 1
	s_cbranch_scc1 .LBB25_25
; %bb.22:                               ;   in Loop: Header=BB25_7 Depth=1
	s_and_b32 s37, s15, 1
	s_add_u32 s38, s40, -4
	s_addc_u32 s39, s41, -1
	v_mov_b32_e32 v6, 0
.LBB25_23:                              ;   Parent Loop BB25_7 Depth=1
                                        ; =>  This Inner Loop Header: Depth=2
	s_ashr_i32 s15, s14, 31
	s_lshl_b64 s[40:41], s[14:15], 2
	s_add_u32 s40, s38, s40
	s_addc_u32 s41, s39, s41
	global_load_dwordx2 v[8:9], v2, s[40:41]
	s_add_i32 s14, s14, -2
	s_cmp_lg_u32 s37, s14
	s_waitcnt vmcnt(0)
	v_add_u32_e32 v6, v8, v6
	v_add_u32_e32 v5, v9, v5
	s_cbranch_scc1 .LBB25_23
; %bb.24:                               ;   in Loop: Header=BB25_7 Depth=1
	s_cmp_lg_u32 s37, 0
	v_add_u32_e32 v5, v5, v6
	s_cselect_b64 s[14:15], -1, 0
	s_and_b64 vcc, exec, s[14:15]
	s_cbranch_vccnz .LBB25_26
	s_branch .LBB25_27
.LBB25_25:                              ;   in Loop: Header=BB25_7 Depth=1
	s_cbranch_execz .LBB25_27
.LBB25_26:                              ;   in Loop: Header=BB25_7 Depth=1
	s_lshl_b32 s14, s37, 2
	v_mov_b32_e32 v6, s14
	global_load_dword v6, v6, s[8:9] offset:8
	s_waitcnt vmcnt(0)
	v_add_u32_e32 v5, v6, v5
.LBB25_27:                              ;   in Loop: Header=BB25_7 Depth=1
	s_mul_i32 s4, s4, s11
	s_sub_i32 s4, s6, s4
	v_cmp_lt_i32_e32 vcc, s4, v4
	s_cbranch_vccz .LBB25_6
; %bb.28:                               ;   in Loop: Header=BB25_7 Depth=1
	s_add_i32 s8, s4, s5
	s_ashr_i32 s9, s8, 31
	s_lshl_b64 s[4:5], s[8:9], 2
	s_add_u32 s4, s34, s4
	s_addc_u32 s5, s35, s5
	global_load_dword v4, v2, s[4:5]
	s_waitcnt vmcnt(0)
	v_cmp_ne_u32_e32 vcc, 1, v4
	s_cbranch_vccnz .LBB25_6
; %bb.29:                               ;   in Loop: Header=BB25_7 Depth=1
	s_and_saveexec_b64 s[4:5], s[0:1]
	s_cbranch_execz .LBB25_31
; %bb.30:                               ;   in Loop: Header=BB25_7 Depth=1
	s_lshl_b64 s[14:15], s[8:9], 3
	s_add_u32 s38, s23, s14
	s_addc_u32 s39, s26, s15
	s_add_u32 s14, s24, s14
	s_addc_u32 s15, s25, s15
	global_load_dwordx2 v[6:7], v2, s[14:15]
	s_waitcnt vmcnt(0)
	global_store_dwordx2 v2, v[6:7], s[38:39]
.LBB25_31:                              ;   in Loop: Header=BB25_7 Depth=1
	s_or_b64 exec, exec, s[4:5]
	v_cmp_lt_i32_e32 vcc, v0, v5
	s_and_saveexec_b64 s[4:5], vcc
	s_cbranch_execz .LBB25_5
; %bb.32:                               ;   in Loop: Header=BB25_7 Depth=1
	v_add_u32_e32 v4, v5, v3
	v_add_u32_e32 v3, v3, v0
	s_mul_i32 s9, s8, s21
	s_mul_i32 s8, s8, s3
	v_add_u32_e32 v6, s8, v3
	v_ashrrev_i32_e32 v7, 31, v6
	v_lshlrev_b64 v[6:7], 3, v[6:7]
	v_mov_b32_e32 v8, s13
	v_add_co_u32_e32 v5, vcc, s12, v6
	v_addc_co_u32_e32 v6, vcc, v8, v7, vcc
	v_add_u32_e32 v8, s9, v3
	v_ashrrev_i32_e32 v9, 31, v8
	v_lshlrev_b64 v[8:9], 3, v[8:9]
	v_mov_b32_e32 v10, s17
	v_add_co_u32_e32 v7, vcc, s16, v8
	v_addc_co_u32_e32 v8, vcc, v10, v9, vcc
	s_mov_b64 s[8:9], 0
	s_mov_b64 s[14:15], 0
.LBB25_33:                              ;   Parent Loop BB25_7 Depth=1
                                        ; =>  This Inner Loop Header: Depth=2
	v_mov_b32_e32 v9, s15
	v_add_co_u32_e32 v10, vcc, s14, v7
	v_addc_co_u32_e32 v11, vcc, v8, v9, vcc
	global_load_dwordx2 v[10:11], v[10:11], off
	v_add_co_u32_e32 v12, vcc, s14, v5
	v_add_u32_e32 v3, s29, v3
	s_add_u32 s14, s14, s36
	v_addc_co_u32_e32 v13, vcc, v6, v9, vcc
	s_addc_u32 s15, s15, 0
	v_cmp_ge_i32_e32 vcc, v3, v4
	s_or_b64 s[8:9], vcc, s[8:9]
	s_waitcnt vmcnt(0)
	flat_store_dwordx2 v[12:13], v[10:11]
	s_andn2_b64 exec, exec, s[8:9]
	s_cbranch_execnz .LBB25_33
	s_branch .LBB25_5
.LBB25_34:
	s_endpgm
.LBB25_35:
                                        ; implicit-def: $sgpr12_sgpr13
                                        ; implicit-def: $sgpr22_sgpr23
	s_branch .LBB25_2
	.section	.rodata,"a",@progbits
	.p2align	6, 0x0
	.amdhsa_kernel _ZN9rocsolver6v33100L25stedcx_mergeUpdate_kernelIdEEviiPT_lS3_iilS3_S3_Pi
		.amdhsa_group_segment_fixed_size 0
		.amdhsa_private_segment_fixed_size 0
		.amdhsa_kernarg_size 328
		.amdhsa_user_sgpr_count 6
		.amdhsa_user_sgpr_private_segment_buffer 1
		.amdhsa_user_sgpr_dispatch_ptr 0
		.amdhsa_user_sgpr_queue_ptr 0
		.amdhsa_user_sgpr_kernarg_segment_ptr 1
		.amdhsa_user_sgpr_dispatch_id 0
		.amdhsa_user_sgpr_flat_scratch_init 0
		.amdhsa_user_sgpr_kernarg_preload_length 0
		.amdhsa_user_sgpr_kernarg_preload_offset 0
		.amdhsa_user_sgpr_private_segment_size 0
		.amdhsa_uses_dynamic_stack 0
		.amdhsa_system_sgpr_private_segment_wavefront_offset 0
		.amdhsa_system_sgpr_workgroup_id_x 1
		.amdhsa_system_sgpr_workgroup_id_y 1
		.amdhsa_system_sgpr_workgroup_id_z 1
		.amdhsa_system_sgpr_workgroup_info 0
		.amdhsa_system_vgpr_workitem_id 0
		.amdhsa_next_free_vgpr 14
		.amdhsa_next_free_sgpr 48
		.amdhsa_accum_offset 16
		.amdhsa_reserve_vcc 1
		.amdhsa_reserve_flat_scratch 0
		.amdhsa_float_round_mode_32 0
		.amdhsa_float_round_mode_16_64 0
		.amdhsa_float_denorm_mode_32 3
		.amdhsa_float_denorm_mode_16_64 3
		.amdhsa_dx10_clamp 1
		.amdhsa_ieee_mode 1
		.amdhsa_fp16_overflow 0
		.amdhsa_tg_split 0
		.amdhsa_exception_fp_ieee_invalid_op 0
		.amdhsa_exception_fp_denorm_src 0
		.amdhsa_exception_fp_ieee_div_zero 0
		.amdhsa_exception_fp_ieee_overflow 0
		.amdhsa_exception_fp_ieee_underflow 0
		.amdhsa_exception_fp_ieee_inexact 0
		.amdhsa_exception_int_div_zero 0
	.end_amdhsa_kernel
	.section	.text._ZN9rocsolver6v33100L25stedcx_mergeUpdate_kernelIdEEviiPT_lS3_iilS3_S3_Pi,"axG",@progbits,_ZN9rocsolver6v33100L25stedcx_mergeUpdate_kernelIdEEviiPT_lS3_iilS3_S3_Pi,comdat
.Lfunc_end25:
	.size	_ZN9rocsolver6v33100L25stedcx_mergeUpdate_kernelIdEEviiPT_lS3_iilS3_S3_Pi, .Lfunc_end25-_ZN9rocsolver6v33100L25stedcx_mergeUpdate_kernelIdEEviiPT_lS3_iilS3_S3_Pi
                                        ; -- End function
	.section	.AMDGPU.csdata,"",@progbits
; Kernel info:
; codeLenInByte = 1544
; NumSgprs: 52
; NumVgprs: 14
; NumAgprs: 0
; TotalNumVgprs: 14
; ScratchSize: 0
; MemoryBound: 0
; FloatMode: 240
; IeeeMode: 1
; LDSByteSize: 0 bytes/workgroup (compile time only)
; SGPRBlocks: 6
; VGPRBlocks: 1
; NumSGPRsForWavesPerEU: 52
; NumVGPRsForWavesPerEU: 14
; AccumOffset: 16
; Occupancy: 8
; WaveLimiterHint : 1
; COMPUTE_PGM_RSRC2:SCRATCH_EN: 0
; COMPUTE_PGM_RSRC2:USER_SGPR: 6
; COMPUTE_PGM_RSRC2:TRAP_HANDLER: 0
; COMPUTE_PGM_RSRC2:TGID_X_EN: 1
; COMPUTE_PGM_RSRC2:TGID_Y_EN: 1
; COMPUTE_PGM_RSRC2:TGID_Z_EN: 1
; COMPUTE_PGM_RSRC2:TIDIG_COMP_CNT: 0
; COMPUTE_PGM_RSRC3_GFX90A:ACCUM_OFFSET: 3
; COMPUTE_PGM_RSRC3_GFX90A:TG_SPLIT: 0
	.section	.text._ZN9rocsolver6v33100L23stedcx_synthesis_kernelIdEEv15rocblas_erange_iiiPT_lPiS4_lS4_iliS5_S4_S3_,"axG",@progbits,_ZN9rocsolver6v33100L23stedcx_synthesis_kernelIdEEv15rocblas_erange_iiiPT_lPiS4_lS4_iliS5_S4_S3_,comdat
	.globl	_ZN9rocsolver6v33100L23stedcx_synthesis_kernelIdEEv15rocblas_erange_iiiPT_lPiS4_lS4_iliS5_S4_S3_ ; -- Begin function _ZN9rocsolver6v33100L23stedcx_synthesis_kernelIdEEv15rocblas_erange_iiiPT_lPiS4_lS4_iliS5_S4_S3_
	.p2align	8
	.type	_ZN9rocsolver6v33100L23stedcx_synthesis_kernelIdEEv15rocblas_erange_iiiPT_lPiS4_lS4_iliS5_S4_S3_,@function
_ZN9rocsolver6v33100L23stedcx_synthesis_kernelIdEEv15rocblas_erange_iiiPT_lPiS4_lS4_iliS5_S4_S3_: ; @_ZN9rocsolver6v33100L23stedcx_synthesis_kernelIdEEv15rocblas_erange_iiiPT_lPiS4_lS4_iliS5_S4_S3_
; %bb.0:
	s_load_dwordx4 s[8:11], s[4:5], 0x0
	s_load_dword s0, s[4:5], 0x7c
	s_load_dwordx8 s[24:31], s[4:5], 0x10
	s_load_dwordx4 s[12:15], s[4:5], 0x30
	s_ashr_i32 s21, s7, 31
	s_mov_b32 s20, s7
	s_waitcnt lgkmcnt(0)
	s_and_b32 s33, s0, 0xffff
	s_mul_i32 s0, s7, s27
	s_mul_hi_u32 s1, s7, s26
	s_add_i32 s0, s1, s0
	s_mul_i32 s1, s21, s26
	s_add_i32 s1, s0, s1
	s_mul_i32 s0, s7, s26
	s_lshl_b64 s[0:1], s[0:1], 3
	s_add_u32 s6, s24, s0
	s_addc_u32 s7, s25, s1
	s_mul_i32 s0, s20, s13
	s_mul_hi_u32 s1, s20, s12
	s_add_i32 s0, s1, s0
	s_mul_i32 s1, s21, s12
	s_add_i32 s1, s0, s1
	s_mul_i32 s0, s20, s12
	s_lshl_b64 s[0:1], s[0:1], 3
	s_add_u32 s44, s30, s0
	s_addc_u32 s45, s31, s1
	s_lshl_b64 s[0:1], s[20:21], 2
	s_add_u32 s12, s28, s0
	s_addc_u32 s13, s29, s1
	s_cmpk_lg_i32 s8, 0xe7
	s_mov_b64 s[0:1], -1
	s_cbranch_scc0 .LBB26_53
; %bb.1:
	s_load_dwordx4 s[0:3], s[4:5], 0x58
	s_mul_i32 s16, s9, 5
	s_add_i32 s16, s16, 2
	s_mul_i32 s16, s16, s20
	s_ashr_i32 s17, s16, 31
	s_lshl_b64 s[16:17], s[16:17], 2
	s_waitcnt lgkmcnt(0)
	s_add_u32 s16, s0, s16
	s_mov_b32 s36, s9
	s_addc_u32 s17, s1, s17
	s_ashr_i32 s37, s9, 31
	s_lshl_b64 s[0:1], s[36:37], 2
	s_add_u32 s40, s16, s0
	s_addc_u32 s41, s17, s1
	s_lshl_b32 s0, s9, 1
	s_ashr_i32 s1, s0, 31
	s_lshl_b64 s[0:1], s[0:1], 2
	s_add_u32 s46, s40, s0
	s_addc_u32 s47, s41, s1
	v_cmp_eq_u32_e32 vcc, 0, v0
	s_and_saveexec_b64 s[22:23], vcc
	s_cbranch_execz .LBB26_44
; %bb.2:
	s_lshl_b32 s42, s9, 2
	s_or_b32 s0, s42, 2
	s_mul_i32 s0, s0, s20
	s_ashr_i32 s1, s0, 31
	s_lshl_b64 s[0:1], s[0:1], 3
	s_add_u32 s24, s2, s0
	s_addc_u32 s25, s3, s1
	s_load_dwordx4 s[16:19], s[24:25], 0x0
	s_cmp_gt_i32 s9, 0
	s_cselect_b64 s[30:31], -1, 0
	s_cmpk_eq_i32 s8, 0xe9
	s_cbranch_scc1 .LBB26_8
; %bb.3:
	s_andn2_b64 vcc, exec, s[30:31]
	s_cbranch_vccnz .LBB26_9
; %bb.4:
	s_add_u32 s26, s46, 8
	s_addc_u32 s27, s47, 0
	s_mov_b32 s34, 0
	v_mov_b32_e32 v1, 0
	v_mov_b32_e32 v4, 1
	s_mov_b64 s[28:29], s[6:7]
	s_mov_b32 s8, s36
	s_branch .LBB26_6
.LBB26_5:                               ;   in Loop: Header=BB26_6 Depth=1
	s_add_i32 s8, s8, -1
	s_add_u32 s26, s26, 4
	s_addc_u32 s27, s27, 0
	s_add_u32 s28, s28, 8
	s_addc_u32 s29, s29, 0
	s_cmp_eq_u32 s8, 0
	s_cbranch_scc1 .LBB26_10
.LBB26_6:                               ; =>This Inner Loop Header: Depth=1
	global_load_dwordx2 v[2:3], v1, s[28:29]
	s_waitcnt vmcnt(0) lgkmcnt(0)
	v_cmp_nle_f64_e32 vcc, s[16:17], v[2:3]
	v_cmp_nge_f64_e64 s[0:1], s[18:19], v[2:3]
	s_or_b64 s[0:1], vcc, s[0:1]
	s_and_b64 vcc, exec, s[0:1]
	global_store_dword v1, v1, s[26:27]
	s_cbranch_vccnz .LBB26_5
; %bb.7:                                ;   in Loop: Header=BB26_6 Depth=1
	s_ashr_i32 s35, s34, 31
	s_add_i32 s38, s34, 1
	s_lshl_b64 s[0:1], s[34:35], 3
	s_add_u32 s0, s44, s0
	s_mov_b32 s34, s38
	s_addc_u32 s1, s45, s1
	global_store_dword v1, v4, s[26:27]
	global_store_dwordx2 v1, v[2:3], s[0:1]
	s_branch .LBB26_5
.LBB26_8:
                                        ; implicit-def: $sgpr34
	s_branch .LBB26_11
.LBB26_9:
	s_mov_b32 s34, 0
.LBB26_10:
	s_cbranch_execnz .LBB26_43
.LBB26_11:
	s_lshl_b64 s[26:27], s[36:37], 3
	s_add_u32 s0, s24, s26
	s_addc_u32 s1, s25, s27
	s_add_u32 s28, s0, 24
	s_addc_u32 s29, s1, 0
	s_add_u32 s43, s28, s26
	s_addc_u32 s48, s29, s27
	s_andn2_b64 vcc, exec, s[30:31]
	s_cbranch_vccnz .LBB26_16
; %bb.12:
	s_add_u32 s34, s46, 8
	s_addc_u32 s35, s47, 0
	s_add_u32 s8, s40, 8
	s_addc_u32 s37, s41, 0
	s_add_u32 s49, s43, -8
	s_addc_u32 s50, s48, -1
	s_mov_b32 s51, 0
	v_mov_b32_e32 v1, 0
	v_mov_b32_e32 v4, 1
	s_mov_b64 s[38:39], s[6:7]
	s_mov_b32 s30, 0
	s_branch .LBB26_14
.LBB26_13:                              ;   in Loop: Header=BB26_14 Depth=1
	s_add_i32 s51, s51, 1
	s_add_u32 s34, s34, 4
	s_addc_u32 s35, s35, 0
	s_add_u32 s38, s38, 8
	s_addc_u32 s39, s39, 0
	s_cmp_eq_u32 s9, s51
	s_cbranch_scc1 .LBB26_17
.LBB26_14:                              ; =>This Inner Loop Header: Depth=1
	global_load_dwordx2 v[2:3], v1, s[38:39]
	s_waitcnt vmcnt(0) lgkmcnt(0)
	v_cmp_nle_f64_e32 vcc, s[16:17], v[2:3]
	v_cmp_nge_f64_e64 s[0:1], s[18:19], v[2:3]
	s_or_b64 s[0:1], vcc, s[0:1]
	s_and_b64 vcc, exec, s[0:1]
	global_store_dword v1, v1, s[34:35]
	s_cbranch_vccnz .LBB26_13
; %bb.15:                               ;   in Loop: Header=BB26_14 Depth=1
	s_ashr_i32 s31, s30, 31
	s_add_i32 s54, s30, 1
	s_lshl_b64 s[0:1], s[30:31], 2
	s_add_u32 s0, s8, s0
	s_addc_u32 s1, s37, s1
	s_add_i32 s52, s30, s9
	s_ashr_i32 s53, s52, 31
	s_lshl_b64 s[52:53], s[52:53], 3
	s_add_u32 s52, s49, s52
	s_addc_u32 s53, s50, s53
	s_lshl_b64 s[30:31], s[30:31], 3
	s_add_u32 s30, s49, s30
	s_addc_u32 s31, s50, s31
	global_store_dword v1, v4, s[34:35]
	global_store_dwordx2 v1, v[2:3], s[30:31]
	global_store_dwordx2 v1, v[2:3], s[52:53]
	v_mov_b32_e32 v2, s51
	s_mov_b32 s30, s54
	global_store_dword v1, v2, s[0:1]
	s_branch .LBB26_13
.LBB26_16:
	s_mov_b32 s30, 0
.LBB26_17:
	s_cmp_lt_i32 s30, 2
	s_mul_hi_i32 s53, s36, 24
	s_mul_i32 s54, s36, 24
	s_cbranch_scc1 .LBB26_24
; %bb.18:
	s_add_u32 s0, s43, s26
	s_addc_u32 s1, s48, s27
	s_add_u32 s8, s0, -8
	s_addc_u32 s31, s1, -1
	s_add_u32 s49, s0, -16
	s_addc_u32 s50, s1, -1
	s_add_i32 s0, s42, 2
	s_mul_i32 s0, s20, s0
	s_ashr_i32 s1, s0, 31
	s_lshl_b64 s[0:1], s[0:1], 3
	s_add_u32 s0, s54, s0
	s_addc_u32 s1, s53, s1
	s_add_u32 s0, s0, s2
	s_addc_u32 s1, s1, s3
	;; [unrolled: 2-line block ×3, first 2 shown]
	s_waitcnt lgkmcnt(0)
	s_mov_b32 s16, 1
	v_mov_b32_e32 v1, 0
	s_branch .LBB26_20
.LBB26_19:                              ;   in Loop: Header=BB26_20 Depth=1
	s_add_i32 s16, s16, 1
	s_add_u32 s0, s0, 8
	s_addc_u32 s1, s1, 0
	s_cmp_lg_u32 s16, s30
	s_cbranch_scc0 .LBB26_24
.LBB26_20:                              ; =>This Loop Header: Depth=1
                                        ;     Child Loop BB26_21 Depth 2
	s_ashr_i32 s17, s16, 31
	s_add_i32 s37, s16, -1
	s_lshl_b64 s[34:35], s[16:17], 3
	s_add_u32 s34, s49, s34
	s_addc_u32 s35, s50, s35
	global_load_dwordx2 v[2:3], v1, s[34:35]
	s_mov_b64 s[38:39], s[0:1]
	s_mov_b32 s17, s16
	s_mov_b32 s36, s37
	s_waitcnt vmcnt(0)
	v_pk_mov_b32 v[4:5], v[2:3], v[2:3] op_sel:[0,1]
.LBB26_21:                              ;   Parent Loop BB26_20 Depth=1
                                        ; =>  This Inner Loop Header: Depth=2
	global_load_dwordx2 v[6:7], v1, s[38:39]
	s_waitcnt vmcnt(0)
	v_cmp_lt_f64_e32 vcc, v[6:7], v[4:5]
	s_and_b64 s[56:57], vcc, exec
	s_cselect_b32 s36, s17, s36
	s_add_i32 s17, s17, 1
	s_add_u32 s38, s38, 8
	s_addc_u32 s39, s39, 0
	v_cndmask_b32_e32 v5, v5, v7, vcc
	s_cmp_ge_i32 s17, s30
	v_cndmask_b32_e32 v4, v4, v6, vcc
	s_cbranch_scc0 .LBB26_21
; %bb.22:                               ;   in Loop: Header=BB26_20 Depth=1
	s_cmp_lg_u32 s36, s37
	s_cbranch_scc0 .LBB26_19
; %bb.23:                               ;   in Loop: Header=BB26_20 Depth=1
	s_ashr_i32 s37, s36, 31
	s_lshl_b64 s[36:37], s[36:37], 3
	s_add_u32 s36, s8, s36
	s_addc_u32 s37, s31, s37
	global_store_dwordx2 v1, v[2:3], s[36:37]
	global_store_dwordx2 v1, v[4:5], s[34:35]
	s_branch .LBB26_19
.LBB26_24:
	s_cmp_lt_i32 s30, 1
	s_cbranch_scc1 .LBB26_42
; %bb.25:
	s_add_i32 s8, s30, -1
	s_cmp_gt_i32 s9, 1
	s_cselect_b64 s[0:1], -1, 0
	s_add_u32 s31, s43, -8
	s_addc_u32 s48, s48, -1
	s_add_u32 s49, s40, 8
	s_addc_u32 s50, s41, 0
	s_add_u32 s51, s46, 8
	s_addc_u32 s52, s47, 0
	s_add_i32 s42, s42, 2
	s_waitcnt lgkmcnt(0)
	s_mul_i32 s16, s20, s42
	s_ashr_i32 s17, s16, 31
	s_lshl_b64 s[16:17], s[16:17], 3
	s_add_u32 s2, s16, s2
	s_addc_u32 s3, s17, s3
	s_add_u32 s16, s2, s54
	s_addc_u32 s17, s3, s53
	s_add_u32 s16, s16, 16
	s_addc_u32 s17, s17, 0
	s_add_i32 s53, s9, -1
	s_add_u32 s36, s2, 24
	s_mov_b32 s39, 0
	v_cndmask_b32_e64 v2, 0, 1, s[0:1]
	s_addc_u32 s37, s3, 0
	v_mov_b32_e32 v1, 0
	v_cmp_ne_u32_e64 s[0:1], 1, v2
	s_mov_b32 s38, s39
	s_mov_b32 s34, s39
	s_branch .LBB26_28
.LBB26_26:                              ;   in Loop: Header=BB26_28 Depth=1
	s_mov_b32 s34, s35
.LBB26_27:                              ;   in Loop: Header=BB26_28 Depth=1
	s_add_i32 s38, s38, 1
	s_cmp_eq_u32 s38, s30
	s_cbranch_scc1 .LBB26_43
.LBB26_28:                              ; =>This Loop Header: Depth=1
                                        ;     Child Loop BB26_30 Depth 2
                                        ;     Child Loop BB26_37 Depth 2
	s_lshl_b64 s[2:3], s[38:39], 3
	s_add_u32 s2, s31, s2
	s_addc_u32 s3, s48, s3
	global_load_dwordx2 v[2:3], v1, s[2:3]
	s_mov_b64 s[42:43], s[16:17]
	s_mov_b32 s54, s39
	s_branch .LBB26_30
.LBB26_29:                              ;   in Loop: Header=BB26_30 Depth=2
	s_add_i32 s54, s35, 1
	s_cmp_eq_u32 s30, s54
	s_mov_b64 s[40:41], 0
	s_cselect_b64 s[42:43], -1, 0
	s_andn2_b64 vcc, exec, s[42:43]
	s_mov_b64 s[42:43], s[2:3]
	s_cbranch_vccz .LBB26_32
.LBB26_30:                              ;   Parent Loop BB26_28 Depth=1
                                        ; =>  This Inner Loop Header: Depth=2
	global_load_dwordx2 v[6:7], v1, s[42:43]
	s_add_u32 s2, s42, 8
	s_mov_b32 s35, s54
	s_addc_u32 s3, s43, 0
	s_waitcnt vmcnt(0)
	v_cmp_neq_f64_e32 vcc, v[2:3], v[6:7]
	s_cbranch_vccnz .LBB26_29
; %bb.31:                               ;   in Loop: Header=BB26_28 Depth=1
	s_mov_b64 s[40:41], -1
                                        ; implicit-def: $sgpr54
	s_mov_b64 s[42:43], s[2:3]
.LBB26_32:                              ;   in Loop: Header=BB26_28 Depth=1
	s_and_b64 vcc, exec, s[40:41]
	s_cbranch_vccz .LBB26_27
; %bb.33:                               ;   in Loop: Header=BB26_28 Depth=1
	s_cmp_eq_u32 s35, s8
	v_pk_mov_b32 v[8:9], s[18:19], s[18:19] op_sel:[0,1]
	s_cbranch_scc1 .LBB26_35
; %bb.34:                               ;   in Loop: Header=BB26_28 Depth=1
	global_load_dwordx2 v[8:9], v1, s[2:3]
.LBB26_35:                              ;   in Loop: Header=BB26_28 Depth=1
	global_load_dwordx2 v[10:11], v1, s[28:29] offset:-8
	global_load_dwordx2 v[4:5], v1, s[24:25] offset:16
	s_waitcnt vmcnt(2)
	v_add_f64 v[6:7], v[8:9], -v[6:7]
	v_fma_f64 v[6:7], 0.5, v[6:7], v[2:3]
	s_and_b64 vcc, exec, s[0:1]
	s_waitcnt vmcnt(1)
	v_add_f64 v[8:9], v[10:11], -v[6:7]
	s_waitcnt vmcnt(0)
	v_cmp_le_f64_e64 s[2:3], v[8:9], v[4:5]
	v_cndmask_b32_e64 v10, 0, 1, s[2:3]
	v_readfirstlane_b32 s35, v10
	s_cbranch_vccnz .LBB26_38
; %bb.36:                               ;   in Loop: Header=BB26_28 Depth=1
	v_cmp_gt_f64_e64 s[40:41], v[8:9], -v[4:5]
	v_xor_b32_e32 v10, 0x80000000, v5
	s_and_b64 vcc, s[2:3], s[40:41]
	v_cndmask_b32_e32 v9, v9, v10, vcc
	v_cndmask_b32_e32 v8, v8, v4, vcc
	s_mov_b64 s[40:41], s[36:37]
	s_mov_b32 s42, s53
.LBB26_37:                              ;   Parent Loop BB26_28 Depth=1
                                        ; =>  This Inner Loop Header: Depth=2
	s_add_u32 s2, s40, s26
	s_addc_u32 s3, s41, s27
	global_load_dwordx2 v[12:13], v1, s[2:3]
	global_load_dwordx2 v[14:15], v1, s[40:41]
	s_waitcnt vmcnt(1)
	v_add_f64 v[12:13], v[12:13], -v[6:7]
	s_waitcnt vmcnt(0)
	v_div_scale_f64 v[16:17], s[2:3], v[8:9], v[8:9], v[14:15]
	v_rcp_f64_e32 v[20:21], v[16:17]
	v_div_scale_f64 v[18:19], vcc, v[14:15], v[8:9], v[14:15]
	v_fma_f64 v[22:23], -v[16:17], v[20:21], 1.0
	v_fmac_f64_e32 v[20:21], v[20:21], v[22:23]
	v_fma_f64 v[22:23], -v[16:17], v[20:21], 1.0
	v_fmac_f64_e32 v[20:21], v[20:21], v[22:23]
	v_mul_f64 v[22:23], v[18:19], v[20:21]
	v_fma_f64 v[16:17], -v[16:17], v[22:23], v[18:19]
	v_div_fmas_f64 v[16:17], v[16:17], v[20:21], v[22:23]
	v_div_fixup_f64 v[8:9], v[16:17], v[8:9], v[14:15]
	v_add_f64 v[8:9], v[12:13], -v[8:9]
	v_cmp_le_f64_e32 vcc, v[8:9], v[4:5]
	v_cmp_gt_f64_e64 s[2:3], v[8:9], -v[4:5]
	s_and_b64 s[2:3], vcc, s[2:3]
	s_cmp_lg_u64 vcc, 0
	s_addc_u32 s35, s35, 0
	s_add_i32 s42, s42, -1
	s_add_u32 s40, s40, 8
	s_addc_u32 s41, s41, 0
	v_cndmask_b32_e64 v9, v9, v10, s[2:3]
	s_cmp_lg_u32 s42, 0
	v_cndmask_b32_e64 v8, v8, v4, s[2:3]
	s_cbranch_scc1 .LBB26_37
.LBB26_38:                              ;   in Loop: Header=BB26_28 Depth=1
	s_cmp_lt_i32 s35, s10
	s_cselect_b64 s[2:3], -1, 0
	s_cmp_gt_i32 s35, s11
	s_cselect_b64 s[40:41], -1, 0
	s_or_b64 s[40:41], s[2:3], s[40:41]
	s_mov_b64 s[2:3], -1
	s_and_b64 vcc, exec, s[40:41]
                                        ; implicit-def: $sgpr35
	s_cbranch_vccnz .LBB26_40
; %bb.39:                               ;   in Loop: Header=BB26_28 Depth=1
	s_ashr_i32 s35, s34, 31
	s_lshl_b64 s[2:3], s[34:35], 3
	s_add_u32 s2, s44, s2
	s_addc_u32 s3, s45, s3
	global_store_dwordx2 v1, v[2:3], s[2:3]
	s_add_i32 s35, s34, 1
	s_mov_b64 s[2:3], 0
.LBB26_40:                              ;   in Loop: Header=BB26_28 Depth=1
	s_andn2_b64 vcc, exec, s[2:3]
	s_cbranch_vccnz .LBB26_26
; %bb.41:                               ;   in Loop: Header=BB26_28 Depth=1
	s_lshl_b64 s[2:3], s[38:39], 2
	s_add_u32 s2, s49, s2
	s_addc_u32 s3, s50, s3
	global_load_dword v2, v1, s[2:3]
	v_mov_b32_e32 v4, s52
	s_mov_b32 s35, s34
	s_waitcnt vmcnt(0)
	v_ashrrev_i32_e32 v3, 31, v2
	v_lshlrev_b64 v[2:3], 2, v[2:3]
	v_add_co_u32_e32 v2, vcc, s51, v2
	v_addc_co_u32_e32 v3, vcc, v4, v3, vcc
	global_store_dword v[2:3], v1, off
	s_branch .LBB26_26
.LBB26_42:
	s_mov_b32 s34, 0
.LBB26_43:
	v_mov_b32_e32 v1, 0
	v_mov_b32_e32 v2, s34
	global_store_dword v1, v2, s[12:13]
.LBB26_44:
	s_or_b64 exec, exec, s[22:23]
	s_cmp_lt_i32 s9, 1
	s_waitcnt lgkmcnt(0)
	s_barrier
	s_cbranch_scc1 .LBB26_52
; %bb.45:
	s_load_dwordx2 s[0:1], s[4:5], 0x48
	s_load_dword s8, s[4:5], 0x40
	v_cmp_le_i32_e32 vcc, s9, v0
	v_mov_b32_e32 v1, 0
	v_mov_b32_e32 v2, v0
	s_waitcnt lgkmcnt(0)
	s_mul_i32 s1, s20, s1
	s_mul_hi_u32 s2, s20, s0
	s_mul_i32 s3, s21, s0
	s_add_i32 s1, s2, s1
	s_mul_i32 s0, s20, s0
	s_add_i32 s1, s1, s3
	s_lshl_b64 s[0:1], s[0:1], 3
	s_add_u32 s0, s14, s0
	s_addc_u32 s1, s15, s1
	s_add_u32 s18, s46, 8
	s_mov_b32 s3, 0
	s_addc_u32 s19, s47, 0
	s_lshl_b32 s20, s33, 3
	s_xor_b64 s[4:5], vcc, -1
	s_mov_b32 s2, s3
	s_mov_b32 s21, s3
	s_branch .LBB26_48
.LBB26_46:                              ;   in Loop: Header=BB26_48 Depth=1
	s_or_b64 exec, exec, s[10:11]
	s_add_i32 s21, s21, 1
.LBB26_47:                              ;   in Loop: Header=BB26_48 Depth=1
	s_add_i32 s2, s2, 1
	s_cmp_lg_u32 s2, s9
	v_add_u32_e32 v2, s8, v2
	s_barrier
	s_cbranch_scc0 .LBB26_52
.LBB26_48:                              ; =>This Loop Header: Depth=1
                                        ;     Child Loop BB26_51 Depth 2
	s_lshl_b64 s[10:11], s[2:3], 2
	s_add_u32 s10, s18, s10
	s_addc_u32 s11, s19, s11
	global_load_dword v3, v1, s[10:11]
	s_waitcnt vmcnt(0)
	v_cmp_ne_u32_e32 vcc, 1, v3
	s_cbranch_vccnz .LBB26_47
; %bb.49:                               ;   in Loop: Header=BB26_48 Depth=1
	s_cmp_lg_u32 s2, s21
	s_cselect_b64 s[10:11], -1, 0
	s_and_b64 s[14:15], s[10:11], s[4:5]
	s_and_saveexec_b64 s[10:11], s[14:15]
	s_cbranch_execz .LBB26_46
; %bb.50:                               ;   in Loop: Header=BB26_48 Depth=1
	s_mul_i32 s14, s21, s8
	v_add_u32_e32 v6, s14, v0
	v_ashrrev_i32_e32 v3, 31, v2
	v_ashrrev_i32_e32 v7, 31, v6
	v_lshlrev_b64 v[4:5], 3, v[2:3]
	v_lshlrev_b64 v[6:7], 3, v[6:7]
	s_mov_b64 s[14:15], 0
	s_mov_b64 s[16:17], s[0:1]
	v_mov_b32_e32 v3, v0
.LBB26_51:                              ;   Parent Loop BB26_48 Depth=1
                                        ; =>  This Inner Loop Header: Depth=2
	v_mov_b32_e32 v11, s17
	v_add_co_u32_e32 v8, vcc, s16, v4
	v_addc_co_u32_e32 v9, vcc, v11, v5, vcc
	global_load_dwordx2 v[8:9], v[8:9], off
	v_add_co_u32_e32 v10, vcc, s16, v6
	v_add_u32_e32 v3, s33, v3
	s_add_u32 s16, s16, s20
	v_addc_co_u32_e32 v11, vcc, v11, v7, vcc
	s_addc_u32 s17, s17, 0
	v_cmp_le_i32_e32 vcc, s9, v3
	s_or_b64 s[14:15], vcc, s[14:15]
	s_waitcnt vmcnt(0)
	global_store_dwordx2 v[10:11], v[8:9], off
	s_andn2_b64 exec, exec, s[14:15]
	s_cbranch_execnz .LBB26_51
	s_branch .LBB26_46
.LBB26_52:
	s_mov_b64 s[0:1], 0
.LBB26_53:
	s_and_b64 vcc, exec, s[0:1]
	s_cbranch_vccz .LBB26_57
; %bb.54:
	v_mov_b32_e32 v1, 0
	v_mov_b32_e32 v2, s9
	v_cmp_gt_i32_e32 vcc, s9, v0
	global_store_dword v1, v2, s[12:13]
	s_and_saveexec_b64 s[0:1], vcc
	s_cbranch_execz .LBB26_57
; %bb.55:
	s_mov_b32 s3, 0
	v_lshlrev_b32_e32 v2, 3, v0
	s_lshl_b32 s2, s33, 3
	s_mov_b64 s[0:1], 0
	v_mov_b32_e32 v3, s7
	v_mov_b32_e32 v4, s45
	;; [unrolled: 1-line block ×3, first 2 shown]
.LBB26_56:                              ; =>This Inner Loop Header: Depth=1
	v_add_co_u32_e32 v6, vcc, s6, v2
	v_addc_co_u32_e32 v7, vcc, v3, v1, vcc
	global_load_dwordx2 v[6:7], v[6:7], off
	v_add_co_u32_e32 v8, vcc, s44, v2
	v_addc_co_u32_e32 v9, vcc, v4, v1, vcc
	v_add_co_u32_e32 v2, vcc, s2, v2
	v_add_u32_e32 v0, s33, v0
	v_addc_co_u32_e32 v1, vcc, v1, v5, vcc
	v_cmp_le_i32_e32 vcc, s9, v0
	s_or_b64 s[0:1], vcc, s[0:1]
	s_waitcnt vmcnt(0)
	global_store_dwordx2 v[8:9], v[6:7], off
	s_andn2_b64 exec, exec, s[0:1]
	s_cbranch_execnz .LBB26_56
.LBB26_57:
	s_endpgm
	.section	.rodata,"a",@progbits
	.p2align	6, 0x0
	.amdhsa_kernel _ZN9rocsolver6v33100L23stedcx_synthesis_kernelIdEEv15rocblas_erange_iiiPT_lPiS4_lS4_iliS5_S4_S3_
		.amdhsa_group_segment_fixed_size 0
		.amdhsa_private_segment_fixed_size 0
		.amdhsa_kernarg_size 368
		.amdhsa_user_sgpr_count 6
		.amdhsa_user_sgpr_private_segment_buffer 1
		.amdhsa_user_sgpr_dispatch_ptr 0
		.amdhsa_user_sgpr_queue_ptr 0
		.amdhsa_user_sgpr_kernarg_segment_ptr 1
		.amdhsa_user_sgpr_dispatch_id 0
		.amdhsa_user_sgpr_flat_scratch_init 0
		.amdhsa_user_sgpr_kernarg_preload_length 0
		.amdhsa_user_sgpr_kernarg_preload_offset 0
		.amdhsa_user_sgpr_private_segment_size 0
		.amdhsa_uses_dynamic_stack 0
		.amdhsa_system_sgpr_private_segment_wavefront_offset 0
		.amdhsa_system_sgpr_workgroup_id_x 1
		.amdhsa_system_sgpr_workgroup_id_y 1
		.amdhsa_system_sgpr_workgroup_id_z 0
		.amdhsa_system_sgpr_workgroup_info 0
		.amdhsa_system_vgpr_workitem_id 0
		.amdhsa_next_free_vgpr 24
		.amdhsa_next_free_sgpr 58
		.amdhsa_accum_offset 24
		.amdhsa_reserve_vcc 1
		.amdhsa_reserve_flat_scratch 0
		.amdhsa_float_round_mode_32 0
		.amdhsa_float_round_mode_16_64 0
		.amdhsa_float_denorm_mode_32 3
		.amdhsa_float_denorm_mode_16_64 3
		.amdhsa_dx10_clamp 1
		.amdhsa_ieee_mode 1
		.amdhsa_fp16_overflow 0
		.amdhsa_tg_split 0
		.amdhsa_exception_fp_ieee_invalid_op 0
		.amdhsa_exception_fp_denorm_src 0
		.amdhsa_exception_fp_ieee_div_zero 0
		.amdhsa_exception_fp_ieee_overflow 0
		.amdhsa_exception_fp_ieee_underflow 0
		.amdhsa_exception_fp_ieee_inexact 0
		.amdhsa_exception_int_div_zero 0
	.end_amdhsa_kernel
	.section	.text._ZN9rocsolver6v33100L23stedcx_synthesis_kernelIdEEv15rocblas_erange_iiiPT_lPiS4_lS4_iliS5_S4_S3_,"axG",@progbits,_ZN9rocsolver6v33100L23stedcx_synthesis_kernelIdEEv15rocblas_erange_iiiPT_lPiS4_lS4_iliS5_S4_S3_,comdat
.Lfunc_end26:
	.size	_ZN9rocsolver6v33100L23stedcx_synthesis_kernelIdEEv15rocblas_erange_iiiPT_lPiS4_lS4_iliS5_S4_S3_, .Lfunc_end26-_ZN9rocsolver6v33100L23stedcx_synthesis_kernelIdEEv15rocblas_erange_iiiPT_lPiS4_lS4_iliS5_S4_S3_
                                        ; -- End function
	.section	.AMDGPU.csdata,"",@progbits
; Kernel info:
; codeLenInByte = 2172
; NumSgprs: 62
; NumVgprs: 24
; NumAgprs: 0
; TotalNumVgprs: 24
; ScratchSize: 0
; MemoryBound: 0
; FloatMode: 240
; IeeeMode: 1
; LDSByteSize: 0 bytes/workgroup (compile time only)
; SGPRBlocks: 7
; VGPRBlocks: 2
; NumSGPRsForWavesPerEU: 62
; NumVGPRsForWavesPerEU: 24
; AccumOffset: 24
; Occupancy: 8
; WaveLimiterHint : 1
; COMPUTE_PGM_RSRC2:SCRATCH_EN: 0
; COMPUTE_PGM_RSRC2:USER_SGPR: 6
; COMPUTE_PGM_RSRC2:TRAP_HANDLER: 0
; COMPUTE_PGM_RSRC2:TGID_X_EN: 1
; COMPUTE_PGM_RSRC2:TGID_Y_EN: 1
; COMPUTE_PGM_RSRC2:TGID_Z_EN: 0
; COMPUTE_PGM_RSRC2:TIDIG_COMP_CNT: 0
; COMPUTE_PGM_RSRC3_GFX90A:ACCUM_OFFSET: 5
; COMPUTE_PGM_RSRC3_GFX90A:TG_SPLIT: 0
	.section	.text._ZN9rocsolver6v33100L8copy_matIdPdNS0_7no_maskEEEvNS0_17copymat_directionEiiT0_iilPT_T1_13rocblas_fill_17rocblas_diagonal_,"axG",@progbits,_ZN9rocsolver6v33100L8copy_matIdPdNS0_7no_maskEEEvNS0_17copymat_directionEiiT0_iilPT_T1_13rocblas_fill_17rocblas_diagonal_,comdat
	.globl	_ZN9rocsolver6v33100L8copy_matIdPdNS0_7no_maskEEEvNS0_17copymat_directionEiiT0_iilPT_T1_13rocblas_fill_17rocblas_diagonal_ ; -- Begin function _ZN9rocsolver6v33100L8copy_matIdPdNS0_7no_maskEEEvNS0_17copymat_directionEiiT0_iilPT_T1_13rocblas_fill_17rocblas_diagonal_
	.p2align	8
	.type	_ZN9rocsolver6v33100L8copy_matIdPdNS0_7no_maskEEEvNS0_17copymat_directionEiiT0_iilPT_T1_13rocblas_fill_17rocblas_diagonal_,@function
_ZN9rocsolver6v33100L8copy_matIdPdNS0_7no_maskEEEvNS0_17copymat_directionEiiT0_iilPT_T1_13rocblas_fill_17rocblas_diagonal_: ; @_ZN9rocsolver6v33100L8copy_matIdPdNS0_7no_maskEEEvNS0_17copymat_directionEiiT0_iilPT_T1_13rocblas_fill_17rocblas_diagonal_
; %bb.0:
	s_load_dword s0, s[4:5], 0x4c
	s_load_dwordx4 s[12:15], s[4:5], 0x0
	v_bfe_u32 v1, v0, 10, 10
	v_and_b32_e32 v0, 0x3ff, v0
	s_waitcnt lgkmcnt(0)
	s_lshr_b32 s1, s0, 16
	s_and_b32 s0, s0, 0xffff
	s_mul_i32 s7, s7, s1
	s_mul_i32 s6, s6, s0
	v_add_u32_e32 v1, s7, v1
	v_add_u32_e32 v0, s6, v0
	v_cmp_gt_u32_e32 vcc, s13, v0
	v_cmp_gt_u32_e64 s[0:1], s14, v1
	s_and_b64 s[0:1], s[0:1], vcc
	s_and_saveexec_b64 s[2:3], s[0:1]
	s_cbranch_execz .LBB27_14
; %bb.1:
	s_load_dwordx2 s[2:3], s[4:5], 0x34
	s_waitcnt lgkmcnt(0)
	s_cmpk_lt_i32 s2, 0x7a
	s_cbranch_scc1 .LBB27_4
; %bb.2:
	s_cmpk_gt_i32 s2, 0x7a
	s_cbranch_scc0 .LBB27_5
; %bb.3:
	s_cmpk_lg_i32 s2, 0x7b
	s_mov_b64 s[6:7], -1
	s_cselect_b64 s[10:11], -1, 0
	s_cbranch_execz .LBB27_6
	s_branch .LBB27_7
.LBB27_4:
	s_mov_b64 s[10:11], 0
	s_mov_b64 s[6:7], 0
	s_cbranch_execnz .LBB27_8
	s_branch .LBB27_10
.LBB27_5:
	s_mov_b64 s[6:7], 0
	s_mov_b64 s[10:11], 0
.LBB27_6:
	v_cmp_gt_u32_e32 vcc, v0, v1
	v_cmp_le_u32_e64 s[0:1], v0, v1
	s_andn2_b64 s[6:7], s[6:7], exec
	s_and_b64 s[16:17], vcc, exec
	s_andn2_b64 s[10:11], s[10:11], exec
	s_and_b64 s[0:1], s[0:1], exec
	s_or_b64 s[6:7], s[6:7], s[16:17]
	s_or_b64 s[10:11], s[10:11], s[0:1]
.LBB27_7:
	s_branch .LBB27_10
.LBB27_8:
	s_cmpk_eq_i32 s2, 0x79
	s_mov_b64 s[10:11], -1
	s_cbranch_scc0 .LBB27_10
; %bb.9:
	v_cmp_gt_u32_e32 vcc, v1, v0
	v_cmp_le_u32_e64 s[0:1], v1, v0
	s_andn2_b64 s[6:7], s[6:7], exec
	s_and_b64 s[10:11], vcc, exec
	s_or_b64 s[6:7], s[6:7], s[10:11]
	s_orn2_b64 s[10:11], s[0:1], exec
.LBB27_10:
	s_and_saveexec_b64 s[0:1], s[10:11]
; %bb.11:
	s_cmpk_eq_i32 s3, 0x83
	s_cselect_b64 s[2:3], -1, 0
	v_cmp_eq_u32_e32 vcc, v0, v1
	s_and_b64 s[2:3], s[2:3], vcc
	s_andn2_b64 s[6:7], s[6:7], exec
	s_and_b64 s[2:3], s[2:3], exec
	s_or_b64 s[6:7], s[6:7], s[2:3]
; %bb.12:
	s_or_b64 exec, exec, s[0:1]
	s_and_b64 exec, exec, s[6:7]
	s_cbranch_execz .LBB27_14
; %bb.13:
	s_load_dwordx8 s[0:7], s[4:5], 0x10
	s_ashr_i32 s9, s13, 31
	s_ashr_i32 s15, s14, 31
	s_mul_i32 s9, s9, s8
	s_waitcnt lgkmcnt(0)
	s_ashr_i32 s11, s2, 31
	s_mov_b32 s10, s2
	s_mul_i32 s2, s8, s5
	s_mul_hi_u32 s5, s8, s4
	s_add_i32 s5, s5, s2
	s_mul_i32 s4, s8, s4
	s_lshl_b64 s[4:5], s[4:5], 3
	s_add_u32 s2, s0, s4
	s_addc_u32 s4, s1, s5
	s_lshl_b64 s[0:1], s[10:11], 3
	s_add_u32 s2, s2, s0
	s_mul_hi_u32 s0, s13, s8
	s_mul_i32 s5, s13, s8
	s_addc_u32 s4, s4, s1
	s_add_i32 s0, s0, s9
	s_mul_i32 s1, s5, s15
	s_mul_hi_u32 s8, s5, s14
	s_add_i32 s1, s8, s1
	s_mul_i32 s0, s0, s14
	s_add_i32 s1, s1, s0
	s_mul_i32 s0, s5, s14
	s_lshl_b64 s[0:1], s[0:1], 3
	s_add_u32 s5, s6, s0
	s_addc_u32 s6, s7, s1
	s_cmp_eq_u32 s12, 0
	s_cselect_b32 s0, s3, s13
	v_mad_u64_u32 v[2:3], s[0:1], v1, s0, v[0:1]
	v_mov_b32_e32 v3, 0
	s_cselect_b32 s7, s4, s6
	s_cselect_b32 s8, s2, s5
	v_lshlrev_b64 v[4:5], 3, v[2:3]
	v_mov_b32_e32 v2, s7
	v_add_co_u32_e32 v4, vcc, s8, v4
	v_addc_co_u32_e32 v5, vcc, v2, v5, vcc
	global_load_dwordx2 v[4:5], v[4:5], off
	s_cselect_b32 s0, s13, s3
	v_mad_u64_u32 v[0:1], s[0:1], v1, s0, v[0:1]
	v_mov_b32_e32 v1, v3
	s_cselect_b32 s3, s6, s4
	s_cselect_b32 s2, s5, s2
	v_lshlrev_b64 v[0:1], 3, v[0:1]
	v_mov_b32_e32 v2, s3
	v_add_co_u32_e32 v0, vcc, s2, v0
	v_addc_co_u32_e32 v1, vcc, v2, v1, vcc
	s_waitcnt vmcnt(0)
	global_store_dwordx2 v[0:1], v[4:5], off
.LBB27_14:
	s_endpgm
	.section	.rodata,"a",@progbits
	.p2align	6, 0x0
	.amdhsa_kernel _ZN9rocsolver6v33100L8copy_matIdPdNS0_7no_maskEEEvNS0_17copymat_directionEiiT0_iilPT_T1_13rocblas_fill_17rocblas_diagonal_
		.amdhsa_group_segment_fixed_size 0
		.amdhsa_private_segment_fixed_size 0
		.amdhsa_kernarg_size 320
		.amdhsa_user_sgpr_count 6
		.amdhsa_user_sgpr_private_segment_buffer 1
		.amdhsa_user_sgpr_dispatch_ptr 0
		.amdhsa_user_sgpr_queue_ptr 0
		.amdhsa_user_sgpr_kernarg_segment_ptr 1
		.amdhsa_user_sgpr_dispatch_id 0
		.amdhsa_user_sgpr_flat_scratch_init 0
		.amdhsa_user_sgpr_kernarg_preload_length 0
		.amdhsa_user_sgpr_kernarg_preload_offset 0
		.amdhsa_user_sgpr_private_segment_size 0
		.amdhsa_uses_dynamic_stack 0
		.amdhsa_system_sgpr_private_segment_wavefront_offset 0
		.amdhsa_system_sgpr_workgroup_id_x 1
		.amdhsa_system_sgpr_workgroup_id_y 1
		.amdhsa_system_sgpr_workgroup_id_z 1
		.amdhsa_system_sgpr_workgroup_info 0
		.amdhsa_system_vgpr_workitem_id 1
		.amdhsa_next_free_vgpr 6
		.amdhsa_next_free_sgpr 18
		.amdhsa_accum_offset 8
		.amdhsa_reserve_vcc 1
		.amdhsa_reserve_flat_scratch 0
		.amdhsa_float_round_mode_32 0
		.amdhsa_float_round_mode_16_64 0
		.amdhsa_float_denorm_mode_32 3
		.amdhsa_float_denorm_mode_16_64 3
		.amdhsa_dx10_clamp 1
		.amdhsa_ieee_mode 1
		.amdhsa_fp16_overflow 0
		.amdhsa_tg_split 0
		.amdhsa_exception_fp_ieee_invalid_op 0
		.amdhsa_exception_fp_denorm_src 0
		.amdhsa_exception_fp_ieee_div_zero 0
		.amdhsa_exception_fp_ieee_overflow 0
		.amdhsa_exception_fp_ieee_underflow 0
		.amdhsa_exception_fp_ieee_inexact 0
		.amdhsa_exception_int_div_zero 0
	.end_amdhsa_kernel
	.section	.text._ZN9rocsolver6v33100L8copy_matIdPdNS0_7no_maskEEEvNS0_17copymat_directionEiiT0_iilPT_T1_13rocblas_fill_17rocblas_diagonal_,"axG",@progbits,_ZN9rocsolver6v33100L8copy_matIdPdNS0_7no_maskEEEvNS0_17copymat_directionEiiT0_iilPT_T1_13rocblas_fill_17rocblas_diagonal_,comdat
.Lfunc_end27:
	.size	_ZN9rocsolver6v33100L8copy_matIdPdNS0_7no_maskEEEvNS0_17copymat_directionEiiT0_iilPT_T1_13rocblas_fill_17rocblas_diagonal_, .Lfunc_end27-_ZN9rocsolver6v33100L8copy_matIdPdNS0_7no_maskEEEvNS0_17copymat_directionEiiT0_iilPT_T1_13rocblas_fill_17rocblas_diagonal_
                                        ; -- End function
	.section	.AMDGPU.csdata,"",@progbits
; Kernel info:
; codeLenInByte = 520
; NumSgprs: 22
; NumVgprs: 6
; NumAgprs: 0
; TotalNumVgprs: 6
; ScratchSize: 0
; MemoryBound: 0
; FloatMode: 240
; IeeeMode: 1
; LDSByteSize: 0 bytes/workgroup (compile time only)
; SGPRBlocks: 2
; VGPRBlocks: 0
; NumSGPRsForWavesPerEU: 22
; NumVGPRsForWavesPerEU: 6
; AccumOffset: 8
; Occupancy: 8
; WaveLimiterHint : 0
; COMPUTE_PGM_RSRC2:SCRATCH_EN: 0
; COMPUTE_PGM_RSRC2:USER_SGPR: 6
; COMPUTE_PGM_RSRC2:TRAP_HANDLER: 0
; COMPUTE_PGM_RSRC2:TGID_X_EN: 1
; COMPUTE_PGM_RSRC2:TGID_Y_EN: 1
; COMPUTE_PGM_RSRC2:TGID_Z_EN: 1
; COMPUTE_PGM_RSRC2:TIDIG_COMP_CNT: 1
; COMPUTE_PGM_RSRC3_GFX90A:ACCUM_OFFSET: 1
; COMPUTE_PGM_RSRC3_GFX90A:TG_SPLIT: 0
	.section	.text._ZN9rocsolver6v33100L11stedcx_sortIddPdEEviPT0_lT1_iiliPiS6_,"axG",@progbits,_ZN9rocsolver6v33100L11stedcx_sortIddPdEEviPT0_lT1_iiliPiS6_,comdat
	.globl	_ZN9rocsolver6v33100L11stedcx_sortIddPdEEviPT0_lT1_iiliPiS6_ ; -- Begin function _ZN9rocsolver6v33100L11stedcx_sortIddPdEEviPT0_lT1_iiliPiS6_
	.p2align	8
	.type	_ZN9rocsolver6v33100L11stedcx_sortIddPdEEviPT0_lT1_iiliPiS6_,@function
_ZN9rocsolver6v33100L11stedcx_sortIddPdEEviPT0_lT1_iiliPiS6_: ; @_ZN9rocsolver6v33100L11stedcx_sortIddPdEEviPT0_lT1_iiliPiS6_
; %bb.0:
	s_load_dword s33, s[4:5], 0x30
	s_add_u32 flat_scratch_lo, s6, s10
	s_addc_u32 flat_scratch_hi, s7, 0
	s_add_u32 s0, s0, s10
	s_addc_u32 s1, s1, 0
	s_waitcnt lgkmcnt(0)
	s_cmp_ge_i32 s9, s33
	s_mov_b32 s32, 0
	s_cbranch_scc1 .LBB28_69
; %bb.1:
	s_load_dword s26, s[4:5], 0x0
	s_load_dwordx8 s[16:23], s[4:5], 0x8
	s_load_dwordx2 s[28:29], s[4:5], 0x28
	s_load_dwordx4 s[12:15], s[4:5], 0x38
	s_mov_b32 s24, s9
	s_waitcnt lgkmcnt(0)
	s_ashr_i32 s27, s26, 31
	s_add_u32 s36, s4, 0x48
	s_mul_hi_i32 s7, s26, s9
	s_mul_i32 s6, s26, s9
	s_addc_u32 s37, s5, 0
	s_lshl_b64 s[6:7], s[6:7], 2
	s_add_u32 s74, s12, s6
	s_addc_u32 s75, s13, s7
	s_cmp_lg_u64 s[20:21], 0
	s_cselect_b64 s[8:9], -1, 0
	s_ashr_i32 s7, s22, 31
	s_mov_b32 s6, s22
	s_lshl_b64 s[6:7], s[6:7], 3
	s_add_u32 s76, s20, s6
	s_addc_u32 s77, s21, s7
	v_cmp_gt_i64_e64 s[34:35], s[26:27], 0
	s_load_dword s27, s[4:5], 0x50
	s_cmp_lg_u64 s[14:15], 0
	s_cselect_b64 s[20:21], -1, 0
	s_cmp_eq_u64 s[16:17], 0
	v_and_b32_e32 v6, 0x3ff, v0
	v_bfe_u32 v7, v0, 10, 10
	v_bfe_u32 v8, v0, 20, 10
	s_cselect_b64 s[38:39], -1, 0
	v_or3_b32 v0, v7, v8, v6
	s_cmp_lg_u64 s[12:13], 0
	v_cmp_eq_u32_e64 s[6:7], 0, v0
	s_cselect_b64 s[42:43], -1, 0
	s_cmp_gt_i32 s23, 0
	v_cndmask_b32_e64 v0, 0, 1, s[8:9]
	s_mov_b64 s[30:31], 0
	s_mov_b32 s41, 0
	s_cselect_b64 s[44:45], -1, 0
	s_mov_b32 s78, s23
	v_mov_b32_e32 v1, 0
	v_cndmask_b32_e64 v9, 0, 1, s[42:43]
	v_cmp_ne_u32_e64 s[8:9], 1, v0
                                        ; implicit-def: $sgpr46_sgpr47
                                        ; implicit-def: $sgpr22_sgpr23
                                        ; implicit-def: $sgpr48_sgpr49
                                        ; implicit-def: $sgpr50_sgpr51
	s_branch .LBB28_4
.LBB28_2:                               ;   in Loop: Header=BB28_4 Depth=1
	s_or_b64 exec, exec, s[52:53]
	s_andn2_b64 s[10:11], s[50:51], exec
	s_and_b64 s[50:51], s[58:59], exec
	s_or_b64 s[50:51], s[10:11], s[50:51]
	s_andn2_b64 s[10:11], s[48:49], exec
	s_and_b64 s[12:13], s[12:13], exec
	s_or_b64 s[48:49], s[10:11], s[12:13]
	s_orn2_b64 s[12:13], s[56:57], exec
.LBB28_3:                               ;   in Loop: Header=BB28_4 Depth=1
	s_or_b64 exec, exec, s[54:55]
	s_and_b64 s[10:11], exec, s[12:13]
	s_or_b64 s[30:31], s[10:11], s[30:31]
	s_andn2_b64 s[10:11], s[22:23], exec
	s_and_b64 s[12:13], s[50:51], exec
	s_or_b64 s[22:23], s[10:11], s[12:13]
	s_andn2_b64 s[10:11], s[46:47], exec
	s_and_b64 s[12:13], s[48:49], exec
	s_or_b64 s[46:47], s[10:11], s[12:13]
	s_andn2_b64 exec, exec, s[30:31]
	s_cbranch_execz .LBB28_65
.LBB28_4:                               ; =>This Loop Header: Depth=1
                                        ;     Child Loop BB28_11 Depth 2
                                        ;     Child Loop BB28_15 Depth 2
                                        ;       Child Loop BB28_18 Depth 3
                                        ;         Child Loop BB28_22 Depth 4
                                        ;     Child Loop BB28_32 Depth 2
                                        ;     Child Loop BB28_46 Depth 2
                                        ;       Child Loop BB28_48 Depth 3
                                        ;         Child Loop BB28_53 Depth 4
                                        ;     Child Loop BB28_57 Depth 2
	s_ashr_i32 s25, s24, 31
	s_and_b64 vcc, exec, s[8:9]
	s_mov_b64 s[52:53], 0
	s_cbranch_vccnz .LBB28_6
; %bb.5:                                ;   in Loop: Header=BB28_4 Depth=1
	s_mul_i32 s10, s24, s29
	s_mul_hi_u32 s11, s24, s28
	s_add_i32 s10, s11, s10
	s_mul_i32 s11, s25, s28
	s_add_i32 s11, s10, s11
	s_mul_i32 s10, s24, s28
	s_lshl_b64 s[10:11], s[10:11], 3
	s_add_u32 s52, s76, s10
	s_addc_u32 s53, s77, s11
.LBB28_6:                               ;   in Loop: Header=BB28_4 Depth=1
	s_andn2_b64 vcc, exec, s[20:21]
	s_mov_b32 s79, s26
	s_cbranch_vccnz .LBB28_8
; %bb.7:                                ;   in Loop: Header=BB28_4 Depth=1
	s_lshl_b64 s[10:11], s[24:25], 2
	s_add_u32 s10, s14, s10
	s_addc_u32 s11, s15, s11
	global_load_dword v0, v1, s[10:11]
	s_waitcnt vmcnt(0)
	v_readfirstlane_b32 s79, v0
.LBB28_8:                               ;   in Loop: Header=BB28_4 Depth=1
	s_cmp_lt_i32 s79, 1
	s_cselect_b64 s[10:11], -1, 0
	s_or_b64 s[10:11], s[38:39], s[10:11]
	s_mov_b64 s[12:13], -1
	s_and_b64 vcc, exec, s[10:11]
	s_mov_b64 s[58:59], -1
	s_waitcnt lgkmcnt(0)
	s_barrier
	s_waitcnt lgkmcnt(0)
                                        ; implicit-def: $sgpr10_sgpr11
                                        ; implicit-def: $sgpr56_sgpr57
	s_cbranch_vccnz .LBB28_41
; %bb.9:                                ;   in Loop: Header=BB28_4 Depth=1
	s_load_dwordx2 s[10:11], s[36:37], 0xc
	s_waitcnt lgkmcnt(0)
	s_barrier
	s_lshr_b32 s40, s10, 16
	s_and_b32 s10, s10, 0xffff
	s_mul_i32 s80, s40, s10
	v_mul_u32_u24_e32 v0, s10, v7
	v_mul_lo_u32 v2, s80, v8
	v_add3_u32 v10, v0, v6, v2
	s_and_b32 s11, s11, 0xffff
	v_cmp_gt_u32_e32 vcc, s79, v10
	s_mul_i32 s80, s80, s11
	s_and_b64 s[54:55], s[42:43], vcc
	s_and_saveexec_b64 s[10:11], s[54:55]
	s_cbranch_execz .LBB28_12
; %bb.10:                               ;   in Loop: Header=BB28_4 Depth=1
	s_mov_b64 s[54:55], 0
	v_mov_b32_e32 v0, v10
.LBB28_11:                              ;   Parent Loop BB28_4 Depth=1
                                        ; =>  This Inner Loop Header: Depth=2
	v_lshlrev_b64 v[2:3], 2, v[0:1]
	v_mov_b32_e32 v4, s75
	v_add_co_u32_e32 v2, vcc, s74, v2
	v_addc_co_u32_e32 v3, vcc, v4, v3, vcc
	global_store_dword v[2:3], v0, off
	v_add_u32_e32 v0, s80, v0
	v_cmp_le_u32_e32 vcc, s79, v0
	s_or_b64 s[54:55], vcc, s[54:55]
	s_andn2_b64 exec, exec, s[54:55]
	s_cbranch_execnz .LBB28_11
.LBB28_12:                              ;   in Loop: Header=BB28_4 Depth=1
	s_or_b64 exec, exec, s[10:11]
	s_mul_i32 s10, s24, s19
	s_mul_hi_u32 s11, s24, s18
	s_add_i32 s10, s11, s10
	s_mul_i32 s11, s25, s18
	s_add_i32 s11, s10, s11
	s_mul_i32 s10, s24, s18
	s_lshl_b64 s[10:11], s[10:11], 3
	s_add_u32 s25, s16, s10
	s_addc_u32 s64, s17, s11
	s_barrier
	s_and_saveexec_b64 s[54:55], s[6:7]
	s_cbranch_execz .LBB28_28
; %bb.13:                               ;   in Loop: Header=BB28_4 Depth=1
	s_mov_b32 s40, 0
	s_branch .LBB28_15
.LBB28_14:                              ;   in Loop: Header=BB28_15 Depth=2
	s_add_i32 s40, s40, 1
	s_cmp_eq_u32 s40, 8
	s_cbranch_scc1 .LBB28_28
.LBB28_15:                              ;   Parent Loop BB28_4 Depth=1
                                        ; =>  This Loop Header: Depth=2
                                        ;       Child Loop BB28_18 Depth 3
                                        ;         Child Loop BB28_22 Depth 4
	s_lshl_b64 s[10:11], s[40:41], 2
	s_getpc_b64 s[56:57]
	s_add_u32 s56, s56, __const._ZN9rocsolver6v33100L20shell_sort_ascendingIdiEEvT0_PT_PS2_.gaps@rel32@lo+4
	s_addc_u32 s57, s57, __const._ZN9rocsolver6v33100L20shell_sort_ascendingIdiEEvT0_PT_PS2_.gaps@rel32@hi+12
	s_add_u32 s10, s10, s56
	s_addc_u32 s11, s11, s57
	s_load_dword s65, s[10:11], 0x0
	s_waitcnt lgkmcnt(0)
	s_cmp_ge_i32 s65, s79
	s_cbranch_scc1 .LBB28_14
; %bb.16:                               ;   in Loop: Header=BB28_15 Depth=2
	s_mov_b32 s66, 0
	s_mov_b32 s56, s65
	s_branch .LBB28_18
.LBB28_17:                              ;   in Loop: Header=BB28_18 Depth=3
	s_add_i32 s56, s56, 1
	s_add_i32 s66, s66, 1
	s_cmp_ge_i32 s56, s79
	s_cbranch_scc1 .LBB28_14
.LBB28_18:                              ;   Parent Loop BB28_4 Depth=1
                                        ;     Parent Loop BB28_15 Depth=2
                                        ; =>    This Loop Header: Depth=3
                                        ;         Child Loop BB28_22 Depth 4
	s_ashr_i32 s57, s56, 31
	s_lshl_b64 s[10:11], s[56:57], 3
	s_add_u32 s10, s25, s10
	s_addc_u32 s11, s64, s11
	global_load_dwordx2 v[2:3], v1, s[10:11]
	v_cmp_ne_u32_e64 s[10:11], 1, v9
	s_andn2_b64 vcc, exec, s[42:43]
	s_cbranch_vccnz .LBB28_20
; %bb.19:                               ;   in Loop: Header=BB28_18 Depth=3
	s_lshl_b64 s[58:59], s[56:57], 2
	s_add_u32 s58, s74, s58
	s_addc_u32 s59, s75, s59
	global_load_dword v0, v1, s[58:59]
	s_cmp_lt_i32 s56, s65
	s_mov_b64 s[58:59], s[56:57]
	s_mov_b32 s60, s66
	s_cbranch_scc0 .LBB28_22
	s_branch .LBB28_26
.LBB28_20:                              ;   in Loop: Header=BB28_18 Depth=3
	v_mov_b32_e32 v0, 0
	s_cmp_lt_i32 s56, s65
	s_mov_b64 s[58:59], s[56:57]
	s_mov_b32 s60, s66
	s_cbranch_scc0 .LBB28_22
	s_branch .LBB28_26
.LBB28_21:                              ;   in Loop: Header=BB28_22 Depth=4
                                        ; implicit-def: $sgpr60
	s_cbranch_execnz .LBB28_26
.LBB28_22:                              ;   Parent Loop BB28_4 Depth=1
                                        ;     Parent Loop BB28_15 Depth=2
                                        ;       Parent Loop BB28_18 Depth=3
                                        ; =>      This Inner Loop Header: Depth=4
	s_ashr_i32 s61, s60, 31
	s_add_i32 s58, s65, s60
	s_lshl_b64 s[62:63], s[60:61], 3
	s_add_u32 s62, s25, s62
	s_addc_u32 s63, s64, s63
	global_load_dwordx2 v[4:5], v1, s[62:63]
	s_ashr_i32 s59, s58, 31
	s_waitcnt vmcnt(0)
	v_cmp_ngt_f64_e32 vcc, v[4:5], v[2:3]
	s_cbranch_vccnz .LBB28_21
; %bb.23:                               ;   in Loop: Header=BB28_22 Depth=4
	s_lshl_b64 s[62:63], s[58:59], 3
	s_add_u32 s62, s25, s62
	s_addc_u32 s63, s64, s63
	s_and_b64 vcc, exec, s[10:11]
	global_store_dwordx2 v1, v[4:5], s[62:63]
	s_cbranch_vccnz .LBB28_25
; %bb.24:                               ;   in Loop: Header=BB28_22 Depth=4
	s_lshl_b64 s[58:59], s[58:59], 2
	s_add_u32 s58, s74, s58
	s_addc_u32 s59, s75, s59
	s_lshl_b64 s[62:63], s[60:61], 2
	s_add_u32 s62, s74, s62
	s_addc_u32 s63, s75, s63
	global_load_dword v4, v1, s[62:63]
	s_waitcnt vmcnt(0)
	global_store_dword v1, v4, s[58:59]
.LBB28_25:                              ;   in Loop: Header=BB28_22 Depth=4
	s_sub_i32 s57, s60, s65
	s_cmp_lt_i32 s60, s65
	s_cselect_b64 s[62:63], -1, 0
	s_mov_b64 s[58:59], s[60:61]
	s_mov_b32 s60, s57
	s_and_b64 vcc, exec, s[62:63]
	s_cbranch_vccz .LBB28_22
.LBB28_26:                              ;   in Loop: Header=BB28_18 Depth=3
	s_lshl_b64 s[60:61], s[58:59], 3
	s_add_u32 s60, s25, s60
	s_addc_u32 s61, s64, s61
	s_and_b64 vcc, exec, s[10:11]
	s_waitcnt vmcnt(0)
	global_store_dwordx2 v1, v[2:3], s[60:61]
	s_cbranch_vccnz .LBB28_17
; %bb.27:                               ;   in Loop: Header=BB28_18 Depth=3
	s_lshl_b64 s[10:11], s[58:59], 2
	s_add_u32 s10, s74, s10
	s_addc_u32 s11, s75, s11
	global_store_dword v1, v0, s[10:11]
	s_branch .LBB28_17
.LBB28_28:                              ;   in Loop: Header=BB28_4 Depth=1
	s_or_b64 exec, exec, s[54:55]
	s_cmp_lt_i32 s79, 2
	s_cselect_b64 s[60:61], -1, 0
	s_and_b64 vcc, exec, s[60:61]
	s_barrier
	s_cbranch_vccnz .LBB28_36
; %bb.29:                               ;   in Loop: Header=BB28_4 Depth=1
	s_add_i32 s40, s79, -1
	v_cmp_gt_u32_e32 vcc, s40, v10
	s_mov_b64 s[60:61], -1
                                        ; implicit-def: $sgpr10_sgpr11
                                        ; implicit-def: $sgpr56_sgpr57
	s_and_saveexec_b64 s[54:55], vcc
	s_cbranch_execz .LBB28_38
; %bb.30:                               ;   in Loop: Header=BB28_4 Depth=1
	s_add_u32 s81, s25, 8
	s_addc_u32 s82, s64, 0
	s_mov_b64 s[56:57], 0
	v_mov_b32_e32 v4, s64
	v_mov_b32_e32 v0, v10
                                        ; implicit-def: $sgpr62_sgpr63
                                        ; implicit-def: $sgpr60_sgpr61
                                        ; implicit-def: $sgpr58_sgpr59
	s_branch .LBB28_32
.LBB28_31:                              ;   in Loop: Header=BB28_32 Depth=2
	s_or_b64 exec, exec, s[72:73]
	s_xor_b64 s[68:69], s[70:71], -1
	s_and_b64 s[10:11], exec, s[10:11]
	s_or_b64 s[56:57], s[10:11], s[56:57]
	s_andn2_b64 s[10:11], s[58:59], exec
	s_and_b64 s[58:59], s[68:69], exec
	s_or_b64 s[58:59], s[10:11], s[58:59]
	s_andn2_b64 s[10:11], s[60:61], exec
	s_and_b64 s[60:61], s[66:67], exec
	;; [unrolled: 3-line block ×3, first 2 shown]
	s_or_b64 s[62:63], s[10:11], s[62:63]
	s_andn2_b64 exec, exec, s[56:57]
	s_cbranch_execz .LBB28_37
.LBB28_32:                              ;   Parent Loop BB28_4 Depth=1
                                        ; =>  This Inner Loop Header: Depth=2
	v_lshlrev_b64 v[2:3], 3, v[0:1]
	v_add_co_u32_e32 v2, vcc, s25, v2
	v_addc_co_u32_e32 v3, vcc, v4, v3, vcc
	global_load_dwordx2 v[2:3], v[2:3], off
                                        ; implicit-def: $sgpr66_sgpr67
                                        ; implicit-def: $sgpr64_sgpr65
	s_waitcnt vmcnt(0)
	v_cmp_u_f64_e64 s[68:69], v[2:3], v[2:3]
	v_cmp_o_f64_e32 vcc, v[2:3], v[2:3]
	s_and_saveexec_b64 s[70:71], vcc
	s_cbranch_execz .LBB28_34
; %bb.33:                               ;   in Loop: Header=BB28_32 Depth=2
	v_ashrrev_i32_e32 v11, 31, v0
	v_mov_b32_e32 v10, v0
	v_lshlrev_b64 v[10:11], 3, v[10:11]
	v_mov_b32_e32 v5, s82
	v_add_co_u32_e32 v10, vcc, s81, v10
	v_addc_co_u32_e32 v11, vcc, v5, v11, vcc
	global_load_dwordx2 v[10:11], v[10:11], off
	s_andn2_b64 s[68:69], s[68:69], exec
	s_mov_b64 s[64:65], 0
	s_mov_b64 s[66:67], -1
	s_waitcnt vmcnt(0)
	v_cmp_u_f64_e32 vcc, v[10:11], v[10:11]
	v_cmp_le_f64_e64 s[10:11], v[2:3], v[10:11]
	s_or_b64 s[10:11], vcc, s[10:11]
	s_and_b64 s[10:11], s[10:11], exec
	s_or_b64 s[68:69], s[68:69], s[10:11]
.LBB28_34:                              ;   in Loop: Header=BB28_32 Depth=2
	s_or_b64 exec, exec, s[70:71]
	s_mov_b64 s[10:11], -1
	s_mov_b64 s[70:71], s[66:67]
	s_and_saveexec_b64 s[72:73], s[68:69]
	s_cbranch_execz .LBB28_31
; %bb.35:                               ;   in Loop: Header=BB28_32 Depth=2
	v_add_u32_e32 v0, s80, v0
	v_cmp_le_u32_e32 vcc, s40, v0
	s_andn2_b64 s[70:71], s[66:67], exec
	s_orn2_b64 s[10:11], vcc, exec
	s_branch .LBB28_31
.LBB28_36:                              ;   in Loop: Header=BB28_4 Depth=1
                                        ; implicit-def: $sgpr10_sgpr11
                                        ; implicit-def: $sgpr56_sgpr57
	s_mov_b64 s[58:59], 0
	s_and_saveexec_b64 s[54:55], s[60:61]
	s_cbranch_execnz .LBB28_39
	s_branch .LBB28_40
.LBB28_37:                              ;   in Loop: Header=BB28_4 Depth=1
	s_or_b64 exec, exec, s[56:57]
	s_and_b64 s[56:57], s[62:63], exec
	s_and_b64 s[10:11], s[60:61], exec
	s_orn2_b64 s[60:61], s[58:59], exec
.LBB28_38:                              ;   in Loop: Header=BB28_4 Depth=1
	s_or_b64 exec, exec, s[54:55]
	s_mov_b64 s[58:59], 0
	s_and_saveexec_b64 s[54:55], s[60:61]
	s_cbranch_execz .LBB28_40
.LBB28_39:                              ;   in Loop: Header=BB28_4 Depth=1
	s_mov_b64 s[58:59], exec
	s_andn2_b64 s[56:57], s[56:57], exec
	s_andn2_b64 s[10:11], s[10:11], exec
	s_barrier
.LBB28_40:                              ;   in Loop: Header=BB28_4 Depth=1
	s_or_b64 exec, exec, s[54:55]
.LBB28_41:                              ;   in Loop: Header=BB28_4 Depth=1
	s_andn2_b64 s[50:51], s[50:51], exec
	s_and_b64 s[54:55], s[56:57], exec
	s_andn2_b64 s[48:49], s[48:49], exec
	s_and_b64 s[10:11], s[10:11], exec
	s_or_b64 s[50:51], s[50:51], s[54:55]
	s_or_b64 s[48:49], s[48:49], s[10:11]
	s_and_saveexec_b64 s[54:55], s[58:59]
	s_cbranch_execz .LBB28_3
; %bb.42:                               ;   in Loop: Header=BB28_4 Depth=1
	s_cmp_lg_u64 s[52:53], 0
	s_cselect_b64 s[10:11], -1, 0
	s_and_b64 s[10:11], s[34:35], s[10:11]
	s_and_b64 s[10:11], s[44:45], s[10:11]
	;; [unrolled: 1-line block ×3, first 2 shown]
	s_mov_b64 s[56:57], -1
	s_and_b64 vcc, exec, s[10:11]
	s_mov_b64 s[10:11], -1
	s_barrier
	s_waitcnt lgkmcnt(0)
                                        ; implicit-def: $sgpr58_sgpr59
                                        ; implicit-def: $sgpr12_sgpr13
	s_cbranch_vccz .LBB28_63
; %bb.43:                               ;   in Loop: Header=BB28_4 Depth=1
	s_load_dwordx2 s[10:11], s[36:37], 0xc
	s_waitcnt lgkmcnt(0)
	s_and_b32 s11, s11, 0xffff
	s_lshr_b32 s12, s10, 16
	s_and_b32 s10, s10, 0xffff
	s_mul_i32 s66, s12, s10
	s_cmp_lt_i32 s79, 0
	v_mul_u32_u24_e32 v0, s10, v7
	v_mul_lo_u32 v2, s66, v8
	s_cselect_b32 s25, s26, s79
	v_add3_u32 v2, v0, v6, v2
	s_cmp_eq_u32 s25, 0
	s_mul_i32 s66, s66, s11
	s_cbranch_scc1 .LBB28_54
; %bb.44:                               ;   in Loop: Header=BB28_4 Depth=1
	s_mov_b32 s40, 0
	v_cmp_eq_u32_e64 s[10:11], 0, v2
	v_cmp_gt_u32_e64 s[12:13], s26, v2
	s_branch .LBB28_46
.LBB28_45:                              ;   in Loop: Header=BB28_46 Depth=2
	s_add_i32 s40, s40, 1
	s_cmp_eq_u32 s40, s25
	s_cbranch_scc1 .LBB28_54
.LBB28_46:                              ;   Parent Loop BB28_4 Depth=1
                                        ; =>  This Loop Header: Depth=2
                                        ;       Child Loop BB28_48 Depth 3
                                        ;         Child Loop BB28_53 Depth 4
	s_lshl_b64 s[58:59], s[40:41], 2
	s_add_u32 s58, s74, s58
	s_addc_u32 s59, s75, s59
	s_barrier
	s_branch .LBB28_48
.LBB28_47:                              ;   in Loop: Header=BB28_48 Depth=3
	s_or_b64 exec, exec, s[60:61]
	s_waitcnt lgkmcnt(0)
	s_barrier
.LBB28_48:                              ;   Parent Loop BB28_4 Depth=1
                                        ;     Parent Loop BB28_46 Depth=2
                                        ; =>    This Loop Header: Depth=3
                                        ;         Child Loop BB28_53 Depth 4
	global_load_dword v0, v1, s[58:59]
	s_waitcnt vmcnt(0)
	v_cmp_eq_u32_e32 vcc, s40, v0
	v_readfirstlane_b32 s62, v0
	s_cbranch_vccnz .LBB28_45
; %bb.49:                               ;   in Loop: Header=BB28_48 Depth=3
	s_ashr_i32 s63, s62, 31
	s_lshl_b64 s[60:61], s[62:63], 2
	s_add_u32 s60, s74, s60
	s_addc_u32 s61, s75, s61
	global_load_dword v0, v1, s[60:61]
	s_barrier
	s_waitcnt vmcnt(0)
	v_readfirstlane_b32 s67, v0
	s_and_saveexec_b64 s[64:65], s[10:11]
	s_cbranch_execz .LBB28_51
; %bb.50:                               ;   in Loop: Header=BB28_48 Depth=3
	v_mov_b32_e32 v0, s62
	global_store_dword v1, v0, s[60:61]
	v_mov_b32_e32 v0, s67
	global_store_dword v1, v0, s[58:59]
.LBB28_51:                              ;   in Loop: Header=BB28_48 Depth=3
	s_or_b64 exec, exec, s[64:65]
	s_barrier
	s_and_saveexec_b64 s[60:61], s[12:13]
	s_cbranch_execz .LBB28_47
; %bb.52:                               ;   in Loop: Header=BB28_48 Depth=3
	s_mul_i32 s63, s63, s78
	s_mul_hi_u32 s64, s62, s78
	s_add_i32 s63, s64, s63
	s_ashr_i32 s64, s67, 31
	s_mul_i32 s62, s62, s78
	s_mul_hi_u32 s65, s67, s78
	s_mul_i32 s64, s64, s78
	s_add_i32 s69, s65, s64
	s_lshl_b64 s[62:63], s[62:63], 3
	s_mul_i32 s68, s67, s78
	s_add_u32 s64, s52, s62
	s_addc_u32 s67, s53, s63
	s_lshl_b64 s[62:63], s[68:69], 3
	s_add_u32 s65, s52, s62
	s_addc_u32 s68, s53, s63
	s_mov_b64 s[62:63], 0
	v_mov_b32_e32 v3, s67
	v_mov_b32_e32 v4, s68
	;; [unrolled: 1-line block ×3, first 2 shown]
.LBB28_53:                              ;   Parent Loop BB28_4 Depth=1
                                        ;     Parent Loop BB28_46 Depth=2
                                        ;       Parent Loop BB28_48 Depth=3
                                        ; =>      This Inner Loop Header: Depth=4
	v_lshlrev_b64 v[10:11], 3, v[0:1]
	v_add_co_u32_e32 v12, vcc, s64, v10
	v_addc_co_u32_e32 v13, vcc, v3, v11, vcc
	v_add_co_u32_e32 v10, vcc, s65, v10
	v_addc_co_u32_e32 v11, vcc, v4, v11, vcc
	flat_load_dwordx2 v[14:15], v[10:11]
	flat_load_dwordx2 v[16:17], v[12:13]
	v_add_u32_e32 v0, s66, v0
	v_cmp_le_u32_e32 vcc, s26, v0
	s_or_b64 s[62:63], vcc, s[62:63]
	s_waitcnt vmcnt(0) lgkmcnt(0)
	flat_store_dwordx2 v[12:13], v[14:15]
	flat_store_dwordx2 v[10:11], v[16:17]
	s_andn2_b64 exec, exec, s[62:63]
	s_cbranch_execnz .LBB28_53
	s_branch .LBB28_47
.LBB28_54:                              ;   in Loop: Header=BB28_4 Depth=1
	v_cmp_gt_u32_e32 vcc, s25, v2
	s_mov_b64 s[52:53], -1
	s_barrier
	s_waitcnt lgkmcnt(0)
                                        ; implicit-def: $sgpr58_sgpr59
                                        ; implicit-def: $sgpr12_sgpr13
	s_and_saveexec_b64 s[10:11], vcc
	s_cbranch_execz .LBB28_60
; %bb.55:                               ;   in Loop: Header=BB28_4 Depth=1
	s_mov_b64 s[12:13], 0
	v_mov_b32_e32 v0, v2
                                        ; implicit-def: $sgpr52_sgpr53
                                        ; implicit-def: $sgpr60_sgpr61
                                        ; implicit-def: $sgpr58_sgpr59
	s_branch .LBB28_57
.LBB28_56:                              ;   in Loop: Header=BB28_57 Depth=2
	s_or_b64 exec, exec, s[62:63]
	s_xor_b64 s[62:63], s[58:59], -1
	s_and_b64 s[64:65], exec, s[60:61]
	s_or_b64 s[12:13], s[64:65], s[12:13]
	s_andn2_b64 s[52:53], s[52:53], exec
	s_and_b64 s[62:63], s[62:63], exec
	s_or_b64 s[52:53], s[52:53], s[62:63]
	s_andn2_b64 exec, exec, s[12:13]
	s_cbranch_execz .LBB28_59
.LBB28_57:                              ;   Parent Loop BB28_4 Depth=1
                                        ; =>  This Inner Loop Header: Depth=2
	v_lshlrev_b64 v[2:3], 2, v[0:1]
	v_mov_b32_e32 v4, s75
	v_add_co_u32_e32 v2, vcc, s74, v2
	v_addc_co_u32_e32 v3, vcc, v4, v3, vcc
	global_load_dword v2, v[2:3], off
	s_or_b64 s[58:59], s[58:59], exec
	s_or_b64 s[60:61], s[60:61], exec
	s_waitcnt vmcnt(0)
	v_cmp_eq_u32_e32 vcc, v0, v2
	s_and_saveexec_b64 s[62:63], vcc
	s_cbranch_execz .LBB28_56
; %bb.58:                               ;   in Loop: Header=BB28_57 Depth=2
	v_add_u32_e32 v0, s66, v0
	v_cmp_le_u32_e32 vcc, s25, v0
	s_andn2_b64 s[60:61], s[60:61], exec
	s_and_b64 s[64:65], vcc, exec
	s_andn2_b64 s[58:59], s[58:59], exec
	s_or_b64 s[60:61], s[60:61], s[64:65]
	s_branch .LBB28_56
.LBB28_59:                              ;   in Loop: Header=BB28_4 Depth=1
	s_or_b64 exec, exec, s[12:13]
	s_mov_b64 s[12:13], 0
	s_mov_b64 s[58:59], -1
	s_orn2_b64 s[52:53], s[52:53], exec
.LBB28_60:                              ;   in Loop: Header=BB28_4 Depth=1
	s_or_b64 exec, exec, s[10:11]
	s_mov_b64 s[10:11], 0
	s_and_saveexec_b64 s[60:61], s[52:53]
	s_cbranch_execz .LBB28_62
; %bb.61:                               ;   in Loop: Header=BB28_4 Depth=1
	s_mov_b64 s[10:11], exec
	s_barrier
	s_waitcnt lgkmcnt(0)
                                        ; implicit-def: $sgpr58_sgpr59
                                        ; implicit-def: $sgpr12_sgpr13
.LBB28_62:                              ;   in Loop: Header=BB28_4 Depth=1
	s_or_b64 exec, exec, s[60:61]
.LBB28_63:                              ;   in Loop: Header=BB28_4 Depth=1
	s_and_saveexec_b64 s[52:53], s[10:11]
	s_cbranch_execz .LBB28_2
; %bb.64:                               ;   in Loop: Header=BB28_4 Depth=1
	s_add_i32 s24, s24, s27
	s_cmp_ge_i32 s24, s33
	s_cselect_b64 s[10:11], -1, 0
	s_andn2_b64 s[58:59], s[58:59], exec
	s_andn2_b64 s[12:13], s[12:13], exec
	s_orn2_b64 s[56:57], s[10:11], exec
	s_barrier
	s_branch .LBB28_2
.LBB28_65:
	s_or_b64 exec, exec, s[30:31]
	s_xor_b64 s[6:7], s[46:47], -1
	s_mov_b64 s[26:27], 0
	s_and_saveexec_b64 s[8:9], s[6:7]
	s_xor_b64 s[28:29], exec, s[8:9]
	s_cbranch_execnz .LBB28_70
; %bb.66:
	s_andn2_saveexec_b64 s[28:29], s[28:29]
	s_cbranch_execnz .LBB28_73
.LBB28_67:
	s_or_b64 exec, exec, s[28:29]
	s_and_saveexec_b64 s[4:5], s[26:27]
.LBB28_68:
	; divergent unreachable
.LBB28_69:
	s_endpgm
.LBB28_70:
	s_mov_b64 s[6:7], 0
	s_and_saveexec_b64 s[8:9], s[22:23]
	s_xor_b64 s[26:27], exec, s[8:9]
	s_cbranch_execz .LBB28_72
; %bb.71:
	s_add_u32 s8, s4, 0x48
	s_addc_u32 s9, s5, 0
	s_getpc_b64 s[6:7]
	s_add_u32 s6, s6, .str.6@rel32@lo+4
	s_addc_u32 s7, s7, .str.6@rel32@hi+12
	s_getpc_b64 s[10:11]
	s_add_u32 s10, s10, __PRETTY_FUNCTION__._ZN9rocsolver6v33100L12permute_swapIdiEEvT0_PT_S2_PS2_S2_@rel32@lo+4
	s_addc_u32 s11, s11, __PRETTY_FUNCTION__._ZN9rocsolver6v33100L12permute_swapIdiEEvT0_PT_S2_PS2_S2_@rel32@hi+12
	v_mov_b32_e32 v0, s6
	v_mov_b32_e32 v1, s7
	;; [unrolled: 1-line block ×5, first 2 shown]
	s_getpc_b64 s[12:13]
	s_add_u32 s12, s12, __assert_fail@rel32@lo+4
	s_addc_u32 s13, s13, __assert_fail@rel32@hi+12
	s_mov_b64 s[34:35], s[4:5]
	s_swappc_b64 s[30:31], s[12:13]
	s_mov_b64 s[4:5], s[34:35]
	s_mov_b64 s[6:7], exec
.LBB28_72:
	s_or_b64 exec, exec, s[26:27]
	s_and_b64 s[26:27], s[6:7], exec
	s_andn2_saveexec_b64 s[28:29], s[28:29]
	s_cbranch_execz .LBB28_67
.LBB28_73:
	s_add_u32 s8, s4, 0x48
	s_addc_u32 s9, s5, 0
	s_getpc_b64 s[4:5]
	s_add_u32 s4, s4, .str.3@rel32@lo+4
	s_addc_u32 s5, s5, .str.3@rel32@hi+12
	s_getpc_b64 s[6:7]
	s_add_u32 s6, s6, __PRETTY_FUNCTION__._ZN9rocsolver6v33100L20shell_sort_ascendingIdiEEvT0_PT_PS2_@rel32@lo+4
	s_addc_u32 s7, s7, __PRETTY_FUNCTION__._ZN9rocsolver6v33100L20shell_sort_ascendingIdiEEvT0_PT_PS2_@rel32@hi+12
	v_mov_b32_e32 v0, s4
	v_mov_b32_e32 v1, s5
	v_mov_b32_e32 v2, 0xea
	v_mov_b32_e32 v3, s6
	v_mov_b32_e32 v4, s7
	s_getpc_b64 s[10:11]
	s_add_u32 s10, s10, __assert_fail@rel32@lo+4
	s_addc_u32 s11, s11, __assert_fail@rel32@hi+12
	s_swappc_b64 s[30:31], s[10:11]
	s_or_b64 s[26:27], s[26:27], exec
	s_or_b64 exec, exec, s[28:29]
	s_and_saveexec_b64 s[4:5], s[26:27]
	s_cbranch_execnz .LBB28_68
	s_branch .LBB28_69
	.section	.rodata,"a",@progbits
	.p2align	6, 0x0
	.amdhsa_kernel _ZN9rocsolver6v33100L11stedcx_sortIddPdEEviPT0_lT1_iiliPiS6_
		.amdhsa_group_segment_fixed_size 0
		.amdhsa_private_segment_fixed_size 64
		.amdhsa_kernarg_size 328
		.amdhsa_user_sgpr_count 8
		.amdhsa_user_sgpr_private_segment_buffer 1
		.amdhsa_user_sgpr_dispatch_ptr 0
		.amdhsa_user_sgpr_queue_ptr 0
		.amdhsa_user_sgpr_kernarg_segment_ptr 1
		.amdhsa_user_sgpr_dispatch_id 0
		.amdhsa_user_sgpr_flat_scratch_init 1
		.amdhsa_user_sgpr_kernarg_preload_length 0
		.amdhsa_user_sgpr_kernarg_preload_offset 0
		.amdhsa_user_sgpr_private_segment_size 0
		.amdhsa_uses_dynamic_stack 0
		.amdhsa_system_sgpr_private_segment_wavefront_offset 1
		.amdhsa_system_sgpr_workgroup_id_x 1
		.amdhsa_system_sgpr_workgroup_id_y 0
		.amdhsa_system_sgpr_workgroup_id_z 1
		.amdhsa_system_sgpr_workgroup_info 0
		.amdhsa_system_vgpr_workitem_id 2
		.amdhsa_next_free_vgpr 51
		.amdhsa_next_free_sgpr 83
		.amdhsa_accum_offset 52
		.amdhsa_reserve_vcc 1
		.amdhsa_reserve_flat_scratch 1
		.amdhsa_float_round_mode_32 0
		.amdhsa_float_round_mode_16_64 0
		.amdhsa_float_denorm_mode_32 3
		.amdhsa_float_denorm_mode_16_64 3
		.amdhsa_dx10_clamp 1
		.amdhsa_ieee_mode 1
		.amdhsa_fp16_overflow 0
		.amdhsa_tg_split 0
		.amdhsa_exception_fp_ieee_invalid_op 0
		.amdhsa_exception_fp_denorm_src 0
		.amdhsa_exception_fp_ieee_div_zero 0
		.amdhsa_exception_fp_ieee_overflow 0
		.amdhsa_exception_fp_ieee_underflow 0
		.amdhsa_exception_fp_ieee_inexact 0
		.amdhsa_exception_int_div_zero 0
	.end_amdhsa_kernel
	.section	.text._ZN9rocsolver6v33100L11stedcx_sortIddPdEEviPT0_lT1_iiliPiS6_,"axG",@progbits,_ZN9rocsolver6v33100L11stedcx_sortIddPdEEviPT0_lT1_iiliPiS6_,comdat
.Lfunc_end28:
	.size	_ZN9rocsolver6v33100L11stedcx_sortIddPdEEviPT0_lT1_iiliPiS6_, .Lfunc_end28-_ZN9rocsolver6v33100L11stedcx_sortIddPdEEviPT0_lT1_iiliPiS6_
                                        ; -- End function
	.section	.AMDGPU.csdata,"",@progbits
; Kernel info:
; codeLenInByte = 2476
; NumSgprs: 89
; NumVgprs: 51
; NumAgprs: 0
; TotalNumVgprs: 51
; ScratchSize: 64
; MemoryBound: 0
; FloatMode: 240
; IeeeMode: 1
; LDSByteSize: 0 bytes/workgroup (compile time only)
; SGPRBlocks: 11
; VGPRBlocks: 6
; NumSGPRsForWavesPerEU: 89
; NumVGPRsForWavesPerEU: 51
; AccumOffset: 52
; Occupancy: 8
; WaveLimiterHint : 1
; COMPUTE_PGM_RSRC2:SCRATCH_EN: 1
; COMPUTE_PGM_RSRC2:USER_SGPR: 8
; COMPUTE_PGM_RSRC2:TRAP_HANDLER: 0
; COMPUTE_PGM_RSRC2:TGID_X_EN: 1
; COMPUTE_PGM_RSRC2:TGID_Y_EN: 0
; COMPUTE_PGM_RSRC2:TGID_Z_EN: 1
; COMPUTE_PGM_RSRC2:TIDIG_COMP_CNT: 2
; COMPUTE_PGM_RSRC3_GFX90A:ACCUM_OFFSET: 12
; COMPUTE_PGM_RSRC3_GFX90A:TG_SPLIT: 0
	.section	.text._ZN9rocsolver6v33100L16reset_batch_infoI19rocblas_complex_numIfEiiPS3_EEvT2_lT0_T1_,"axG",@progbits,_ZN9rocsolver6v33100L16reset_batch_infoI19rocblas_complex_numIfEiiPS3_EEvT2_lT0_T1_,comdat
	.globl	_ZN9rocsolver6v33100L16reset_batch_infoI19rocblas_complex_numIfEiiPS3_EEvT2_lT0_T1_ ; -- Begin function _ZN9rocsolver6v33100L16reset_batch_infoI19rocblas_complex_numIfEiiPS3_EEvT2_lT0_T1_
	.p2align	8
	.type	_ZN9rocsolver6v33100L16reset_batch_infoI19rocblas_complex_numIfEiiPS3_EEvT2_lT0_T1_,@function
_ZN9rocsolver6v33100L16reset_batch_infoI19rocblas_complex_numIfEiiPS3_EEvT2_lT0_T1_: ; @_ZN9rocsolver6v33100L16reset_batch_infoI19rocblas_complex_numIfEiiPS3_EEvT2_lT0_T1_
; %bb.0:
	s_load_dword s2, s[4:5], 0x24
	s_load_dwordx2 s[0:1], s[4:5], 0x10
	s_waitcnt lgkmcnt(0)
	s_and_b32 s2, s2, 0xffff
	s_mul_i32 s6, s6, s2
	v_add_u32_e32 v0, s6, v0
	v_cmp_gt_i32_e32 vcc, s0, v0
	s_and_saveexec_b64 s[2:3], vcc
	s_cbranch_execz .LBB29_2
; %bb.1:
	s_load_dwordx4 s[8:11], s[4:5], 0x0
	s_ashr_i32 s0, s7, 31
	v_ashrrev_i32_e32 v1, 31, v0
	v_cvt_f32_i32_e32 v2, s1
	v_lshlrev_b64 v[0:1], 3, v[0:1]
	s_waitcnt lgkmcnt(0)
	s_mul_i32 s3, s7, s11
	s_mul_hi_u32 s4, s7, s10
	s_mul_i32 s0, s0, s10
	s_add_i32 s3, s4, s3
	s_mul_i32 s2, s7, s10
	s_add_i32 s3, s3, s0
	s_lshl_b64 s[2:3], s[2:3], 3
	s_add_u32 s0, s8, s2
	s_addc_u32 s2, s9, s3
	v_mov_b32_e32 v3, s2
	v_add_co_u32_e32 v0, vcc, s0, v0
	v_addc_co_u32_e32 v1, vcc, v3, v1, vcc
	v_mov_b32_e32 v3, 0
	global_store_dwordx2 v[0:1], v[2:3], off
.LBB29_2:
	s_endpgm
	.section	.rodata,"a",@progbits
	.p2align	6, 0x0
	.amdhsa_kernel _ZN9rocsolver6v33100L16reset_batch_infoI19rocblas_complex_numIfEiiPS3_EEvT2_lT0_T1_
		.amdhsa_group_segment_fixed_size 0
		.amdhsa_private_segment_fixed_size 0
		.amdhsa_kernarg_size 280
		.amdhsa_user_sgpr_count 6
		.amdhsa_user_sgpr_private_segment_buffer 1
		.amdhsa_user_sgpr_dispatch_ptr 0
		.amdhsa_user_sgpr_queue_ptr 0
		.amdhsa_user_sgpr_kernarg_segment_ptr 1
		.amdhsa_user_sgpr_dispatch_id 0
		.amdhsa_user_sgpr_flat_scratch_init 0
		.amdhsa_user_sgpr_kernarg_preload_length 0
		.amdhsa_user_sgpr_kernarg_preload_offset 0
		.amdhsa_user_sgpr_private_segment_size 0
		.amdhsa_uses_dynamic_stack 0
		.amdhsa_system_sgpr_private_segment_wavefront_offset 0
		.amdhsa_system_sgpr_workgroup_id_x 1
		.amdhsa_system_sgpr_workgroup_id_y 1
		.amdhsa_system_sgpr_workgroup_id_z 0
		.amdhsa_system_sgpr_workgroup_info 0
		.amdhsa_system_vgpr_workitem_id 0
		.amdhsa_next_free_vgpr 4
		.amdhsa_next_free_sgpr 12
		.amdhsa_accum_offset 4
		.amdhsa_reserve_vcc 1
		.amdhsa_reserve_flat_scratch 0
		.amdhsa_float_round_mode_32 0
		.amdhsa_float_round_mode_16_64 0
		.amdhsa_float_denorm_mode_32 3
		.amdhsa_float_denorm_mode_16_64 3
		.amdhsa_dx10_clamp 1
		.amdhsa_ieee_mode 1
		.amdhsa_fp16_overflow 0
		.amdhsa_tg_split 0
		.amdhsa_exception_fp_ieee_invalid_op 0
		.amdhsa_exception_fp_denorm_src 0
		.amdhsa_exception_fp_ieee_div_zero 0
		.amdhsa_exception_fp_ieee_overflow 0
		.amdhsa_exception_fp_ieee_underflow 0
		.amdhsa_exception_fp_ieee_inexact 0
		.amdhsa_exception_int_div_zero 0
	.end_amdhsa_kernel
	.section	.text._ZN9rocsolver6v33100L16reset_batch_infoI19rocblas_complex_numIfEiiPS3_EEvT2_lT0_T1_,"axG",@progbits,_ZN9rocsolver6v33100L16reset_batch_infoI19rocblas_complex_numIfEiiPS3_EEvT2_lT0_T1_,comdat
.Lfunc_end29:
	.size	_ZN9rocsolver6v33100L16reset_batch_infoI19rocblas_complex_numIfEiiPS3_EEvT2_lT0_T1_, .Lfunc_end29-_ZN9rocsolver6v33100L16reset_batch_infoI19rocblas_complex_numIfEiiPS3_EEvT2_lT0_T1_
                                        ; -- End function
	.section	.AMDGPU.csdata,"",@progbits
; Kernel info:
; codeLenInByte = 144
; NumSgprs: 16
; NumVgprs: 4
; NumAgprs: 0
; TotalNumVgprs: 4
; ScratchSize: 0
; MemoryBound: 0
; FloatMode: 240
; IeeeMode: 1
; LDSByteSize: 0 bytes/workgroup (compile time only)
; SGPRBlocks: 1
; VGPRBlocks: 0
; NumSGPRsForWavesPerEU: 16
; NumVGPRsForWavesPerEU: 4
; AccumOffset: 4
; Occupancy: 8
; WaveLimiterHint : 0
; COMPUTE_PGM_RSRC2:SCRATCH_EN: 0
; COMPUTE_PGM_RSRC2:USER_SGPR: 6
; COMPUTE_PGM_RSRC2:TRAP_HANDLER: 0
; COMPUTE_PGM_RSRC2:TGID_X_EN: 1
; COMPUTE_PGM_RSRC2:TGID_Y_EN: 1
; COMPUTE_PGM_RSRC2:TGID_Z_EN: 0
; COMPUTE_PGM_RSRC2:TIDIG_COMP_CNT: 0
; COMPUTE_PGM_RSRC3_GFX90A:ACCUM_OFFSET: 0
; COMPUTE_PGM_RSRC3_GFX90A:TG_SPLIT: 0
	.section	.text._ZN9rocsolver6v33100L10init_identI19rocblas_complex_numIfEPS3_EEviiT0_iil,"axG",@progbits,_ZN9rocsolver6v33100L10init_identI19rocblas_complex_numIfEPS3_EEviiT0_iil,comdat
	.globl	_ZN9rocsolver6v33100L10init_identI19rocblas_complex_numIfEPS3_EEviiT0_iil ; -- Begin function _ZN9rocsolver6v33100L10init_identI19rocblas_complex_numIfEPS3_EEviiT0_iil
	.p2align	8
	.type	_ZN9rocsolver6v33100L10init_identI19rocblas_complex_numIfEPS3_EEviiT0_iil,@function
_ZN9rocsolver6v33100L10init_identI19rocblas_complex_numIfEPS3_EEviiT0_iil: ; @_ZN9rocsolver6v33100L10init_identI19rocblas_complex_numIfEPS3_EEviiT0_iil
; %bb.0:
	s_load_dword s2, s[4:5], 0x2c
	s_load_dwordx2 s[0:1], s[4:5], 0x0
	v_and_b32_e32 v1, 0x3ff, v0
	v_bfe_u32 v0, v0, 10, 10
	s_waitcnt lgkmcnt(0)
	s_lshr_b32 s3, s2, 16
	s_and_b32 s2, s2, 0xffff
	s_mul_i32 s6, s6, s2
	s_mul_i32 s7, s7, s3
	v_add_u32_e32 v4, s6, v1
	v_add_u32_e32 v1, s7, v0
	v_cmp_gt_u32_e32 vcc, s0, v4
	v_cmp_gt_u32_e64 s[0:1], s1, v1
	s_and_b64 s[0:1], vcc, s[0:1]
	s_and_saveexec_b64 s[2:3], s[0:1]
	s_cbranch_execz .LBB30_6
; %bb.1:
	s_load_dwordx2 s[0:1], s[4:5], 0x10
	v_cmp_ne_u32_e32 vcc, v4, v1
                                        ; implicit-def: $sgpr6
                                        ; implicit-def: $vgpr0
	s_and_saveexec_b64 s[2:3], vcc
	s_xor_b64 s[2:3], exec, s[2:3]
	s_cbranch_execz .LBB30_3
; %bb.2:
	s_waitcnt lgkmcnt(0)
	v_mad_u64_u32 v[0:1], s[6:7], v1, s1, v[4:5]
	s_mov_b32 s6, 0
                                        ; implicit-def: $vgpr4
.LBB30_3:
	s_or_saveexec_b64 s[2:3], s[2:3]
	v_mov_b32_e32 v2, s6
	s_xor_b64 exec, exec, s[2:3]
	s_cbranch_execz .LBB30_5
; %bb.4:
	s_waitcnt lgkmcnt(0)
	v_mad_u64_u32 v[0:1], s[6:7], v4, s1, v[4:5]
	v_mov_b32_e32 v2, 1.0
.LBB30_5:
	s_or_b64 exec, exec, s[2:3]
	s_load_dwordx2 s[2:3], s[4:5], 0x18
	s_load_dwordx2 s[6:7], s[4:5], 0x8
	s_waitcnt lgkmcnt(0)
	s_ashr_i32 s1, s0, 31
	v_mov_b32_e32 v1, 0
	v_lshlrev_b64 v[4:5], 3, v[0:1]
	s_mul_i32 s3, s8, s3
	s_mul_hi_u32 s4, s8, s2
	s_mul_i32 s2, s8, s2
	s_add_i32 s3, s4, s3
	s_lshl_b64 s[2:3], s[2:3], 3
	s_add_u32 s2, s6, s2
	s_addc_u32 s3, s7, s3
	s_lshl_b64 s[0:1], s[0:1], 3
	s_add_u32 s0, s2, s0
	s_addc_u32 s1, s3, s1
	v_mov_b32_e32 v0, s1
	v_add_co_u32_e32 v4, vcc, s0, v4
	v_addc_co_u32_e32 v5, vcc, v0, v5, vcc
	v_mov_b32_e32 v3, v1
	global_store_dwordx2 v[4:5], v[2:3], off
.LBB30_6:
	s_endpgm
	.section	.rodata,"a",@progbits
	.p2align	6, 0x0
	.amdhsa_kernel _ZN9rocsolver6v33100L10init_identI19rocblas_complex_numIfEPS3_EEviiT0_iil
		.amdhsa_group_segment_fixed_size 0
		.amdhsa_private_segment_fixed_size 0
		.amdhsa_kernarg_size 288
		.amdhsa_user_sgpr_count 6
		.amdhsa_user_sgpr_private_segment_buffer 1
		.amdhsa_user_sgpr_dispatch_ptr 0
		.amdhsa_user_sgpr_queue_ptr 0
		.amdhsa_user_sgpr_kernarg_segment_ptr 1
		.amdhsa_user_sgpr_dispatch_id 0
		.amdhsa_user_sgpr_flat_scratch_init 0
		.amdhsa_user_sgpr_kernarg_preload_length 0
		.amdhsa_user_sgpr_kernarg_preload_offset 0
		.amdhsa_user_sgpr_private_segment_size 0
		.amdhsa_uses_dynamic_stack 0
		.amdhsa_system_sgpr_private_segment_wavefront_offset 0
		.amdhsa_system_sgpr_workgroup_id_x 1
		.amdhsa_system_sgpr_workgroup_id_y 1
		.amdhsa_system_sgpr_workgroup_id_z 1
		.amdhsa_system_sgpr_workgroup_info 0
		.amdhsa_system_vgpr_workitem_id 1
		.amdhsa_next_free_vgpr 6
		.amdhsa_next_free_sgpr 9
		.amdhsa_accum_offset 8
		.amdhsa_reserve_vcc 1
		.amdhsa_reserve_flat_scratch 0
		.amdhsa_float_round_mode_32 0
		.amdhsa_float_round_mode_16_64 0
		.amdhsa_float_denorm_mode_32 3
		.amdhsa_float_denorm_mode_16_64 3
		.amdhsa_dx10_clamp 1
		.amdhsa_ieee_mode 1
		.amdhsa_fp16_overflow 0
		.amdhsa_tg_split 0
		.amdhsa_exception_fp_ieee_invalid_op 0
		.amdhsa_exception_fp_denorm_src 0
		.amdhsa_exception_fp_ieee_div_zero 0
		.amdhsa_exception_fp_ieee_overflow 0
		.amdhsa_exception_fp_ieee_underflow 0
		.amdhsa_exception_fp_ieee_inexact 0
		.amdhsa_exception_int_div_zero 0
	.end_amdhsa_kernel
	.section	.text._ZN9rocsolver6v33100L10init_identI19rocblas_complex_numIfEPS3_EEviiT0_iil,"axG",@progbits,_ZN9rocsolver6v33100L10init_identI19rocblas_complex_numIfEPS3_EEviiT0_iil,comdat
.Lfunc_end30:
	.size	_ZN9rocsolver6v33100L10init_identI19rocblas_complex_numIfEPS3_EEviiT0_iil, .Lfunc_end30-_ZN9rocsolver6v33100L10init_identI19rocblas_complex_numIfEPS3_EEviiT0_iil
                                        ; -- End function
	.section	.AMDGPU.csdata,"",@progbits
; Kernel info:
; codeLenInByte = 268
; NumSgprs: 13
; NumVgprs: 6
; NumAgprs: 0
; TotalNumVgprs: 6
; ScratchSize: 0
; MemoryBound: 0
; FloatMode: 240
; IeeeMode: 1
; LDSByteSize: 0 bytes/workgroup (compile time only)
; SGPRBlocks: 1
; VGPRBlocks: 0
; NumSGPRsForWavesPerEU: 13
; NumVGPRsForWavesPerEU: 6
; AccumOffset: 8
; Occupancy: 8
; WaveLimiterHint : 0
; COMPUTE_PGM_RSRC2:SCRATCH_EN: 0
; COMPUTE_PGM_RSRC2:USER_SGPR: 6
; COMPUTE_PGM_RSRC2:TRAP_HANDLER: 0
; COMPUTE_PGM_RSRC2:TGID_X_EN: 1
; COMPUTE_PGM_RSRC2:TGID_Y_EN: 1
; COMPUTE_PGM_RSRC2:TGID_Z_EN: 1
; COMPUTE_PGM_RSRC2:TIDIG_COMP_CNT: 1
; COMPUTE_PGM_RSRC3_GFX90A:ACCUM_OFFSET: 1
; COMPUTE_PGM_RSRC3_GFX90A:TG_SPLIT: 0
	.section	.text._ZN9rocsolver6v33100L8copy_matI19rocblas_complex_numIfEfLb1EPS3_TnNSt9enable_ifIX18rocblas_is_complexIT_EEiE4typeELi0EEEvNS0_17copymat_directionEiiT2_iilPT0_13rocblas_fill_17rocblas_diagonal_,"axG",@progbits,_ZN9rocsolver6v33100L8copy_matI19rocblas_complex_numIfEfLb1EPS3_TnNSt9enable_ifIX18rocblas_is_complexIT_EEiE4typeELi0EEEvNS0_17copymat_directionEiiT2_iilPT0_13rocblas_fill_17rocblas_diagonal_,comdat
	.globl	_ZN9rocsolver6v33100L8copy_matI19rocblas_complex_numIfEfLb1EPS3_TnNSt9enable_ifIX18rocblas_is_complexIT_EEiE4typeELi0EEEvNS0_17copymat_directionEiiT2_iilPT0_13rocblas_fill_17rocblas_diagonal_ ; -- Begin function _ZN9rocsolver6v33100L8copy_matI19rocblas_complex_numIfEfLb1EPS3_TnNSt9enable_ifIX18rocblas_is_complexIT_EEiE4typeELi0EEEvNS0_17copymat_directionEiiT2_iilPT0_13rocblas_fill_17rocblas_diagonal_
	.p2align	8
	.type	_ZN9rocsolver6v33100L8copy_matI19rocblas_complex_numIfEfLb1EPS3_TnNSt9enable_ifIX18rocblas_is_complexIT_EEiE4typeELi0EEEvNS0_17copymat_directionEiiT2_iilPT0_13rocblas_fill_17rocblas_diagonal_,@function
_ZN9rocsolver6v33100L8copy_matI19rocblas_complex_numIfEfLb1EPS3_TnNSt9enable_ifIX18rocblas_is_complexIT_EEiE4typeELi0EEEvNS0_17copymat_directionEiiT2_iilPT0_13rocblas_fill_17rocblas_diagonal_: ; @_ZN9rocsolver6v33100L8copy_matI19rocblas_complex_numIfEfLb1EPS3_TnNSt9enable_ifIX18rocblas_is_complexIT_EEiE4typeELi0EEEvNS0_17copymat_directionEiiT2_iilPT0_13rocblas_fill_17rocblas_diagonal_
; %bb.0:
	s_load_dwordx4 s[12:15], s[4:5], 0x0
	s_load_dword s0, s[4:5], 0x44
	v_bfe_u32 v1, v0, 10, 10
	v_and_b32_e32 v0, 0x3ff, v0
	s_waitcnt lgkmcnt(0)
	s_lshr_b32 s1, s0, 16
	s_and_b32 s0, s0, 0xffff
	s_mul_i32 s7, s7, s1
	s_mul_i32 s6, s6, s0
	v_add_u32_e32 v1, s7, v1
	v_add_u32_e32 v0, s6, v0
	v_cmp_gt_u32_e32 vcc, s13, v0
	v_cmp_gt_u32_e64 s[0:1], s14, v1
	s_and_b64 s[0:1], s[0:1], vcc
	s_and_saveexec_b64 s[2:3], s[0:1]
	s_cbranch_execz .LBB31_16
; %bb.1:
	s_load_dwordx2 s[2:3], s[4:5], 0x30
	s_mov_b32 s9, s13
	s_waitcnt lgkmcnt(0)
	s_cmpk_lt_i32 s2, 0x7a
	s_cbranch_scc1 .LBB31_4
; %bb.2:
	s_cmpk_gt_i32 s2, 0x7a
	s_cbranch_scc0 .LBB31_5
; %bb.3:
	s_cmpk_lg_i32 s2, 0x7b
	s_mov_b64 s[6:7], -1
	s_cselect_b64 s[10:11], -1, 0
	s_cbranch_execz .LBB31_6
	s_branch .LBB31_7
.LBB31_4:
	s_mov_b64 s[10:11], 0
	s_mov_b64 s[6:7], 0
	s_cbranch_execnz .LBB31_8
	s_branch .LBB31_10
.LBB31_5:
	s_mov_b64 s[6:7], 0
	s_mov_b64 s[10:11], 0
.LBB31_6:
	v_cmp_gt_u32_e32 vcc, v0, v1
	v_cmp_le_u32_e64 s[0:1], v0, v1
	s_andn2_b64 s[6:7], s[6:7], exec
	s_and_b64 s[16:17], vcc, exec
	s_andn2_b64 s[10:11], s[10:11], exec
	s_and_b64 s[0:1], s[0:1], exec
	s_or_b64 s[6:7], s[6:7], s[16:17]
	s_or_b64 s[10:11], s[10:11], s[0:1]
.LBB31_7:
	s_branch .LBB31_10
.LBB31_8:
	s_cmpk_eq_i32 s2, 0x79
	s_mov_b64 s[10:11], -1
	s_cbranch_scc0 .LBB31_10
; %bb.9:
	v_cmp_gt_u32_e32 vcc, v1, v0
	v_cmp_le_u32_e64 s[0:1], v1, v0
	s_andn2_b64 s[6:7], s[6:7], exec
	s_and_b64 s[10:11], vcc, exec
	s_or_b64 s[6:7], s[6:7], s[10:11]
	s_orn2_b64 s[10:11], s[0:1], exec
.LBB31_10:
	s_and_saveexec_b64 s[0:1], s[10:11]
; %bb.11:
	s_cmpk_eq_i32 s3, 0x83
	s_cselect_b64 s[2:3], -1, 0
	v_cmp_eq_u32_e32 vcc, v0, v1
	s_and_b64 s[2:3], s[2:3], vcc
	s_andn2_b64 s[6:7], s[6:7], exec
	s_and_b64 s[2:3], s[2:3], exec
	s_or_b64 s[6:7], s[6:7], s[2:3]
; %bb.12:
	s_or_b64 exec, exec, s[0:1]
	s_and_b64 exec, exec, s[6:7]
	s_cbranch_execz .LBB31_16
; %bb.13:
	s_load_dwordx8 s[0:7], s[4:5], 0x10
	s_ashr_i32 s15, s13, 31
	s_ashr_i32 s16, s14, 31
	s_mul_i32 s15, s15, s8
	s_waitcnt lgkmcnt(0)
	s_ashr_i32 s11, s2, 31
	s_mov_b32 s10, s2
	s_mul_i32 s2, s8, s5
	s_mul_hi_u32 s5, s8, s4
	s_add_i32 s5, s5, s2
	s_mul_i32 s4, s8, s4
	s_lshl_b64 s[4:5], s[4:5], 3
	s_add_u32 s2, s0, s4
	s_addc_u32 s4, s1, s5
	s_lshl_b64 s[0:1], s[10:11], 3
	s_add_u32 s2, s2, s0
	s_mul_hi_u32 s0, s13, s8
	s_mul_i32 s5, s13, s8
	s_addc_u32 s4, s4, s1
	s_add_i32 s0, s0, s15
	s_mul_i32 s1, s5, s16
	s_mul_hi_u32 s8, s5, s14
	s_add_i32 s1, s8, s1
	s_mul_i32 s0, s0, s14
	s_add_i32 s1, s1, s0
	s_mul_i32 s0, s5, s14
	s_lshl_b64 s[0:1], s[0:1], 2
	s_add_u32 s5, s6, s0
	s_addc_u32 s6, s7, s1
	s_cmp_lg_u32 s12, 0
	s_cbranch_scc0 .LBB31_17
; %bb.14:
	v_mad_u64_u32 v[2:3], s[0:1], v1, s9, v[0:1]
	v_mov_b32_e32 v3, 0
	v_lshlrev_b64 v[4:5], 2, v[2:3]
	v_mov_b32_e32 v2, s6
	v_add_co_u32_e32 v4, vcc, s5, v4
	v_addc_co_u32_e32 v5, vcc, v2, v5, vcc
	global_load_dword v6, v[4:5], off
	v_mad_u64_u32 v[4:5], s[0:1], v1, s3, v[0:1]
	v_mov_b32_e32 v5, v3
	v_lshlrev_b64 v[2:3], 3, v[4:5]
	v_mov_b32_e32 v7, s4
	v_add_co_u32_e32 v2, vcc, s2, v2
	v_addc_co_u32_e32 v3, vcc, v7, v3, vcc
	s_waitcnt vmcnt(0)
	global_store_dword v[2:3], v6, off
	s_cbranch_execnz .LBB31_16
.LBB31_15:
	v_mad_u64_u32 v[2:3], s[0:1], v1, s3, v[0:1]
	v_mov_b32_e32 v3, 0
	v_lshlrev_b64 v[4:5], 3, v[2:3]
	v_mov_b32_e32 v2, s4
	v_add_co_u32_e32 v4, vcc, s2, v4
	v_addc_co_u32_e32 v5, vcc, v2, v5, vcc
	global_load_dword v2, v[4:5], off
	v_mad_u64_u32 v[0:1], s[0:1], v1, s9, v[0:1]
	v_mov_b32_e32 v1, v3
	v_lshlrev_b64 v[0:1], 2, v[0:1]
	v_mov_b32_e32 v3, s6
	v_add_co_u32_e32 v0, vcc, s5, v0
	v_addc_co_u32_e32 v1, vcc, v3, v1, vcc
	s_waitcnt vmcnt(0)
	global_store_dword v[0:1], v2, off
.LBB31_16:
	s_endpgm
.LBB31_17:
	s_branch .LBB31_15
	.section	.rodata,"a",@progbits
	.p2align	6, 0x0
	.amdhsa_kernel _ZN9rocsolver6v33100L8copy_matI19rocblas_complex_numIfEfLb1EPS3_TnNSt9enable_ifIX18rocblas_is_complexIT_EEiE4typeELi0EEEvNS0_17copymat_directionEiiT2_iilPT0_13rocblas_fill_17rocblas_diagonal_
		.amdhsa_group_segment_fixed_size 0
		.amdhsa_private_segment_fixed_size 0
		.amdhsa_kernarg_size 312
		.amdhsa_user_sgpr_count 6
		.amdhsa_user_sgpr_private_segment_buffer 1
		.amdhsa_user_sgpr_dispatch_ptr 0
		.amdhsa_user_sgpr_queue_ptr 0
		.amdhsa_user_sgpr_kernarg_segment_ptr 1
		.amdhsa_user_sgpr_dispatch_id 0
		.amdhsa_user_sgpr_flat_scratch_init 0
		.amdhsa_user_sgpr_kernarg_preload_length 0
		.amdhsa_user_sgpr_kernarg_preload_offset 0
		.amdhsa_user_sgpr_private_segment_size 0
		.amdhsa_uses_dynamic_stack 0
		.amdhsa_system_sgpr_private_segment_wavefront_offset 0
		.amdhsa_system_sgpr_workgroup_id_x 1
		.amdhsa_system_sgpr_workgroup_id_y 1
		.amdhsa_system_sgpr_workgroup_id_z 1
		.amdhsa_system_sgpr_workgroup_info 0
		.amdhsa_system_vgpr_workitem_id 1
		.amdhsa_next_free_vgpr 8
		.amdhsa_next_free_sgpr 18
		.amdhsa_accum_offset 8
		.amdhsa_reserve_vcc 1
		.amdhsa_reserve_flat_scratch 0
		.amdhsa_float_round_mode_32 0
		.amdhsa_float_round_mode_16_64 0
		.amdhsa_float_denorm_mode_32 3
		.amdhsa_float_denorm_mode_16_64 3
		.amdhsa_dx10_clamp 1
		.amdhsa_ieee_mode 1
		.amdhsa_fp16_overflow 0
		.amdhsa_tg_split 0
		.amdhsa_exception_fp_ieee_invalid_op 0
		.amdhsa_exception_fp_denorm_src 0
		.amdhsa_exception_fp_ieee_div_zero 0
		.amdhsa_exception_fp_ieee_overflow 0
		.amdhsa_exception_fp_ieee_underflow 0
		.amdhsa_exception_fp_ieee_inexact 0
		.amdhsa_exception_int_div_zero 0
	.end_amdhsa_kernel
	.section	.text._ZN9rocsolver6v33100L8copy_matI19rocblas_complex_numIfEfLb1EPS3_TnNSt9enable_ifIX18rocblas_is_complexIT_EEiE4typeELi0EEEvNS0_17copymat_directionEiiT2_iilPT0_13rocblas_fill_17rocblas_diagonal_,"axG",@progbits,_ZN9rocsolver6v33100L8copy_matI19rocblas_complex_numIfEfLb1EPS3_TnNSt9enable_ifIX18rocblas_is_complexIT_EEiE4typeELi0EEEvNS0_17copymat_directionEiiT2_iilPT0_13rocblas_fill_17rocblas_diagonal_,comdat
.Lfunc_end31:
	.size	_ZN9rocsolver6v33100L8copy_matI19rocblas_complex_numIfEfLb1EPS3_TnNSt9enable_ifIX18rocblas_is_complexIT_EEiE4typeELi0EEEvNS0_17copymat_directionEiiT2_iilPT0_13rocblas_fill_17rocblas_diagonal_, .Lfunc_end31-_ZN9rocsolver6v33100L8copy_matI19rocblas_complex_numIfEfLb1EPS3_TnNSt9enable_ifIX18rocblas_is_complexIT_EEiE4typeELi0EEEvNS0_17copymat_directionEiiT2_iilPT0_13rocblas_fill_17rocblas_diagonal_
                                        ; -- End function
	.section	.AMDGPU.csdata,"",@progbits
; Kernel info:
; codeLenInByte = 596
; NumSgprs: 22
; NumVgprs: 8
; NumAgprs: 0
; TotalNumVgprs: 8
; ScratchSize: 0
; MemoryBound: 0
; FloatMode: 240
; IeeeMode: 1
; LDSByteSize: 0 bytes/workgroup (compile time only)
; SGPRBlocks: 2
; VGPRBlocks: 0
; NumSGPRsForWavesPerEU: 22
; NumVGPRsForWavesPerEU: 8
; AccumOffset: 8
; Occupancy: 8
; WaveLimiterHint : 0
; COMPUTE_PGM_RSRC2:SCRATCH_EN: 0
; COMPUTE_PGM_RSRC2:USER_SGPR: 6
; COMPUTE_PGM_RSRC2:TRAP_HANDLER: 0
; COMPUTE_PGM_RSRC2:TGID_X_EN: 1
; COMPUTE_PGM_RSRC2:TGID_Y_EN: 1
; COMPUTE_PGM_RSRC2:TGID_Z_EN: 1
; COMPUTE_PGM_RSRC2:TIDIG_COMP_CNT: 1
; COMPUTE_PGM_RSRC3_GFX90A:ACCUM_OFFSET: 1
; COMPUTE_PGM_RSRC3_GFX90A:TG_SPLIT: 0
	.section	.text._ZN9rocsolver6v33100L8copy_matI19rocblas_complex_numIfEfLb0EPS3_TnNSt9enable_ifIX18rocblas_is_complexIT_EEiE4typeELi0EEEvNS0_17copymat_directionEiiT2_iilPT0_13rocblas_fill_17rocblas_diagonal_,"axG",@progbits,_ZN9rocsolver6v33100L8copy_matI19rocblas_complex_numIfEfLb0EPS3_TnNSt9enable_ifIX18rocblas_is_complexIT_EEiE4typeELi0EEEvNS0_17copymat_directionEiiT2_iilPT0_13rocblas_fill_17rocblas_diagonal_,comdat
	.globl	_ZN9rocsolver6v33100L8copy_matI19rocblas_complex_numIfEfLb0EPS3_TnNSt9enable_ifIX18rocblas_is_complexIT_EEiE4typeELi0EEEvNS0_17copymat_directionEiiT2_iilPT0_13rocblas_fill_17rocblas_diagonal_ ; -- Begin function _ZN9rocsolver6v33100L8copy_matI19rocblas_complex_numIfEfLb0EPS3_TnNSt9enable_ifIX18rocblas_is_complexIT_EEiE4typeELi0EEEvNS0_17copymat_directionEiiT2_iilPT0_13rocblas_fill_17rocblas_diagonal_
	.p2align	8
	.type	_ZN9rocsolver6v33100L8copy_matI19rocblas_complex_numIfEfLb0EPS3_TnNSt9enable_ifIX18rocblas_is_complexIT_EEiE4typeELi0EEEvNS0_17copymat_directionEiiT2_iilPT0_13rocblas_fill_17rocblas_diagonal_,@function
_ZN9rocsolver6v33100L8copy_matI19rocblas_complex_numIfEfLb0EPS3_TnNSt9enable_ifIX18rocblas_is_complexIT_EEiE4typeELi0EEEvNS0_17copymat_directionEiiT2_iilPT0_13rocblas_fill_17rocblas_diagonal_: ; @_ZN9rocsolver6v33100L8copy_matI19rocblas_complex_numIfEfLb0EPS3_TnNSt9enable_ifIX18rocblas_is_complexIT_EEiE4typeELi0EEEvNS0_17copymat_directionEiiT2_iilPT0_13rocblas_fill_17rocblas_diagonal_
; %bb.0:
	s_load_dwordx4 s[12:15], s[4:5], 0x0
	s_load_dword s0, s[4:5], 0x44
	v_bfe_u32 v1, v0, 10, 10
	v_and_b32_e32 v0, 0x3ff, v0
	s_waitcnt lgkmcnt(0)
	s_lshr_b32 s1, s0, 16
	s_and_b32 s0, s0, 0xffff
	s_mul_i32 s7, s7, s1
	s_mul_i32 s6, s6, s0
	v_add_u32_e32 v1, s7, v1
	v_add_u32_e32 v0, s6, v0
	v_cmp_gt_u32_e32 vcc, s13, v0
	v_cmp_gt_u32_e64 s[0:1], s14, v1
	s_and_b64 s[0:1], s[0:1], vcc
	s_and_saveexec_b64 s[2:3], s[0:1]
	s_cbranch_execz .LBB32_16
; %bb.1:
	s_load_dwordx2 s[2:3], s[4:5], 0x30
	s_mov_b32 s9, s13
	s_waitcnt lgkmcnt(0)
	s_cmpk_lt_i32 s2, 0x7a
	s_cbranch_scc1 .LBB32_4
; %bb.2:
	s_cmpk_gt_i32 s2, 0x7a
	s_cbranch_scc0 .LBB32_5
; %bb.3:
	s_cmpk_lg_i32 s2, 0x7b
	s_mov_b64 s[6:7], -1
	s_cselect_b64 s[10:11], -1, 0
	s_cbranch_execz .LBB32_6
	s_branch .LBB32_7
.LBB32_4:
	s_mov_b64 s[10:11], 0
	s_mov_b64 s[6:7], 0
	s_cbranch_execnz .LBB32_8
	s_branch .LBB32_10
.LBB32_5:
	s_mov_b64 s[6:7], 0
	s_mov_b64 s[10:11], 0
.LBB32_6:
	v_cmp_gt_u32_e32 vcc, v0, v1
	v_cmp_le_u32_e64 s[0:1], v0, v1
	s_andn2_b64 s[6:7], s[6:7], exec
	s_and_b64 s[16:17], vcc, exec
	s_andn2_b64 s[10:11], s[10:11], exec
	s_and_b64 s[0:1], s[0:1], exec
	s_or_b64 s[6:7], s[6:7], s[16:17]
	s_or_b64 s[10:11], s[10:11], s[0:1]
.LBB32_7:
	s_branch .LBB32_10
.LBB32_8:
	s_cmpk_eq_i32 s2, 0x79
	s_mov_b64 s[10:11], -1
	s_cbranch_scc0 .LBB32_10
; %bb.9:
	v_cmp_gt_u32_e32 vcc, v1, v0
	v_cmp_le_u32_e64 s[0:1], v1, v0
	s_andn2_b64 s[6:7], s[6:7], exec
	s_and_b64 s[10:11], vcc, exec
	s_or_b64 s[6:7], s[6:7], s[10:11]
	s_orn2_b64 s[10:11], s[0:1], exec
.LBB32_10:
	s_and_saveexec_b64 s[0:1], s[10:11]
; %bb.11:
	s_cmpk_eq_i32 s3, 0x83
	s_cselect_b64 s[2:3], -1, 0
	v_cmp_eq_u32_e32 vcc, v0, v1
	s_and_b64 s[2:3], s[2:3], vcc
	s_andn2_b64 s[6:7], s[6:7], exec
	s_and_b64 s[2:3], s[2:3], exec
	s_or_b64 s[6:7], s[6:7], s[2:3]
; %bb.12:
	s_or_b64 exec, exec, s[0:1]
	s_and_b64 exec, exec, s[6:7]
	s_cbranch_execz .LBB32_16
; %bb.13:
	s_load_dwordx8 s[16:23], s[4:5], 0x10
	s_ashr_i32 s4, s13, 31
	s_ashr_i32 s5, s14, 31
	s_mul_i32 s4, s4, s8
	s_waitcnt lgkmcnt(0)
	s_mul_i32 s2, s8, s21
	s_mul_hi_u32 s3, s8, s20
	s_add_i32 s3, s3, s2
	s_mul_i32 s2, s8, s20
	s_ashr_i32 s1, s18, 31
	s_lshl_b64 s[2:3], s[2:3], 3
	s_mov_b32 s0, s18
	s_add_u32 s2, s16, s2
	s_addc_u32 s3, s17, s3
	s_lshl_b64 s[0:1], s[0:1], 3
	s_add_u32 s2, s2, s0
	s_mul_hi_u32 s0, s13, s8
	s_addc_u32 s3, s3, s1
	s_add_i32 s0, s0, s4
	s_mul_i32 s4, s13, s8
	s_mul_i32 s1, s4, s5
	s_mul_hi_u32 s5, s4, s14
	s_add_i32 s1, s5, s1
	s_mul_i32 s0, s0, s14
	s_add_i32 s1, s1, s0
	s_mul_i32 s0, s4, s14
	s_lshl_b64 s[0:1], s[0:1], 2
	s_add_u32 s4, s22, s0
	s_addc_u32 s5, s23, s1
	v_mad_u64_u32 v[4:5], s[0:1], v1, s19, v[0:1]
	v_mov_b32_e32 v5, 0
	s_cmp_lg_u32 s12, 0
	v_lshlrev_b64 v[2:3], 3, v[4:5]
	s_cbranch_scc0 .LBB32_17
; %bb.14:
	v_mad_u64_u32 v[6:7], s[0:1], v1, s9, v[0:1]
	v_mov_b32_e32 v7, v5
	v_lshlrev_b64 v[4:5], 2, v[6:7]
	v_mov_b32_e32 v6, s5
	v_add_co_u32_e32 v4, vcc, s4, v4
	v_addc_co_u32_e32 v5, vcc, v6, v5, vcc
	global_load_dword v6, v[4:5], off
	v_mov_b32_e32 v5, s3
	v_add_co_u32_e32 v4, vcc, s2, v2
	v_addc_co_u32_e32 v5, vcc, v5, v3, vcc
	s_waitcnt vmcnt(0)
	global_store_dword v[4:5], v6, off offset:4
	s_cbranch_execnz .LBB32_16
.LBB32_15:
	v_mov_b32_e32 v4, s3
	v_add_co_u32_e32 v2, vcc, s2, v2
	v_addc_co_u32_e32 v3, vcc, v4, v3, vcc
	global_load_dword v2, v[2:3], off offset:4
	v_mad_u64_u32 v[0:1], s[0:1], v1, s9, v[0:1]
	v_mov_b32_e32 v1, 0
	v_lshlrev_b64 v[0:1], 2, v[0:1]
	v_mov_b32_e32 v3, s5
	v_add_co_u32_e32 v0, vcc, s4, v0
	v_addc_co_u32_e32 v1, vcc, v3, v1, vcc
	s_waitcnt vmcnt(0)
	global_store_dword v[0:1], v2, off
.LBB32_16:
	s_endpgm
.LBB32_17:
	s_branch .LBB32_15
	.section	.rodata,"a",@progbits
	.p2align	6, 0x0
	.amdhsa_kernel _ZN9rocsolver6v33100L8copy_matI19rocblas_complex_numIfEfLb0EPS3_TnNSt9enable_ifIX18rocblas_is_complexIT_EEiE4typeELi0EEEvNS0_17copymat_directionEiiT2_iilPT0_13rocblas_fill_17rocblas_diagonal_
		.amdhsa_group_segment_fixed_size 0
		.amdhsa_private_segment_fixed_size 0
		.amdhsa_kernarg_size 312
		.amdhsa_user_sgpr_count 6
		.amdhsa_user_sgpr_private_segment_buffer 1
		.amdhsa_user_sgpr_dispatch_ptr 0
		.amdhsa_user_sgpr_queue_ptr 0
		.amdhsa_user_sgpr_kernarg_segment_ptr 1
		.amdhsa_user_sgpr_dispatch_id 0
		.amdhsa_user_sgpr_flat_scratch_init 0
		.amdhsa_user_sgpr_kernarg_preload_length 0
		.amdhsa_user_sgpr_kernarg_preload_offset 0
		.amdhsa_user_sgpr_private_segment_size 0
		.amdhsa_uses_dynamic_stack 0
		.amdhsa_system_sgpr_private_segment_wavefront_offset 0
		.amdhsa_system_sgpr_workgroup_id_x 1
		.amdhsa_system_sgpr_workgroup_id_y 1
		.amdhsa_system_sgpr_workgroup_id_z 1
		.amdhsa_system_sgpr_workgroup_info 0
		.amdhsa_system_vgpr_workitem_id 1
		.amdhsa_next_free_vgpr 8
		.amdhsa_next_free_sgpr 24
		.amdhsa_accum_offset 8
		.amdhsa_reserve_vcc 1
		.amdhsa_reserve_flat_scratch 0
		.amdhsa_float_round_mode_32 0
		.amdhsa_float_round_mode_16_64 0
		.amdhsa_float_denorm_mode_32 3
		.amdhsa_float_denorm_mode_16_64 3
		.amdhsa_dx10_clamp 1
		.amdhsa_ieee_mode 1
		.amdhsa_fp16_overflow 0
		.amdhsa_tg_split 0
		.amdhsa_exception_fp_ieee_invalid_op 0
		.amdhsa_exception_fp_denorm_src 0
		.amdhsa_exception_fp_ieee_div_zero 0
		.amdhsa_exception_fp_ieee_overflow 0
		.amdhsa_exception_fp_ieee_underflow 0
		.amdhsa_exception_fp_ieee_inexact 0
		.amdhsa_exception_int_div_zero 0
	.end_amdhsa_kernel
	.section	.text._ZN9rocsolver6v33100L8copy_matI19rocblas_complex_numIfEfLb0EPS3_TnNSt9enable_ifIX18rocblas_is_complexIT_EEiE4typeELi0EEEvNS0_17copymat_directionEiiT2_iilPT0_13rocblas_fill_17rocblas_diagonal_,"axG",@progbits,_ZN9rocsolver6v33100L8copy_matI19rocblas_complex_numIfEfLb0EPS3_TnNSt9enable_ifIX18rocblas_is_complexIT_EEiE4typeELi0EEEvNS0_17copymat_directionEiiT2_iilPT0_13rocblas_fill_17rocblas_diagonal_,comdat
.Lfunc_end32:
	.size	_ZN9rocsolver6v33100L8copy_matI19rocblas_complex_numIfEfLb0EPS3_TnNSt9enable_ifIX18rocblas_is_complexIT_EEiE4typeELi0EEEvNS0_17copymat_directionEiiT2_iilPT0_13rocblas_fill_17rocblas_diagonal_, .Lfunc_end32-_ZN9rocsolver6v33100L8copy_matI19rocblas_complex_numIfEfLb0EPS3_TnNSt9enable_ifIX18rocblas_is_complexIT_EEiE4typeELi0EEEvNS0_17copymat_directionEiiT2_iilPT0_13rocblas_fill_17rocblas_diagonal_
                                        ; -- End function
	.section	.AMDGPU.csdata,"",@progbits
; Kernel info:
; codeLenInByte = 576
; NumSgprs: 28
; NumVgprs: 8
; NumAgprs: 0
; TotalNumVgprs: 8
; ScratchSize: 0
; MemoryBound: 0
; FloatMode: 240
; IeeeMode: 1
; LDSByteSize: 0 bytes/workgroup (compile time only)
; SGPRBlocks: 3
; VGPRBlocks: 0
; NumSGPRsForWavesPerEU: 28
; NumVGPRsForWavesPerEU: 8
; AccumOffset: 8
; Occupancy: 8
; WaveLimiterHint : 0
; COMPUTE_PGM_RSRC2:SCRATCH_EN: 0
; COMPUTE_PGM_RSRC2:USER_SGPR: 6
; COMPUTE_PGM_RSRC2:TRAP_HANDLER: 0
; COMPUTE_PGM_RSRC2:TGID_X_EN: 1
; COMPUTE_PGM_RSRC2:TGID_Y_EN: 1
; COMPUTE_PGM_RSRC2:TGID_Z_EN: 1
; COMPUTE_PGM_RSRC2:TIDIG_COMP_CNT: 1
; COMPUTE_PGM_RSRC3_GFX90A:ACCUM_OFFSET: 1
; COMPUTE_PGM_RSRC3_GFX90A:TG_SPLIT: 0
	.section	.text._ZN9rocsolver6v33100L11stedcx_sortI19rocblas_complex_numIfEfPS3_EEviPT0_lT1_iiliPiS8_,"axG",@progbits,_ZN9rocsolver6v33100L11stedcx_sortI19rocblas_complex_numIfEfPS3_EEviPT0_lT1_iiliPiS8_,comdat
	.globl	_ZN9rocsolver6v33100L11stedcx_sortI19rocblas_complex_numIfEfPS3_EEviPT0_lT1_iiliPiS8_ ; -- Begin function _ZN9rocsolver6v33100L11stedcx_sortI19rocblas_complex_numIfEfPS3_EEviPT0_lT1_iiliPiS8_
	.p2align	8
	.type	_ZN9rocsolver6v33100L11stedcx_sortI19rocblas_complex_numIfEfPS3_EEviPT0_lT1_iiliPiS8_,@function
_ZN9rocsolver6v33100L11stedcx_sortI19rocblas_complex_numIfEfPS3_EEviPT0_lT1_iiliPiS8_: ; @_ZN9rocsolver6v33100L11stedcx_sortI19rocblas_complex_numIfEfPS3_EEviPT0_lT1_iiliPiS8_
; %bb.0:
	s_load_dword s33, s[4:5], 0x30
	s_add_u32 flat_scratch_lo, s6, s10
	s_addc_u32 flat_scratch_hi, s7, 0
	s_add_u32 s0, s0, s10
	s_addc_u32 s1, s1, 0
	s_waitcnt lgkmcnt(0)
	s_cmp_ge_i32 s9, s33
	s_mov_b32 s32, 0
	s_cbranch_scc1 .LBB33_69
; %bb.1:
	s_load_dword s26, s[4:5], 0x0
	s_load_dwordx8 s[16:23], s[4:5], 0x8
	s_load_dwordx2 s[28:29], s[4:5], 0x28
	s_load_dwordx4 s[12:15], s[4:5], 0x38
	s_mov_b32 s24, s9
	s_waitcnt lgkmcnt(0)
	s_ashr_i32 s27, s26, 31
	s_add_u32 s36, s4, 0x48
	s_mul_hi_i32 s7, s26, s9
	s_mul_i32 s6, s26, s9
	s_addc_u32 s37, s5, 0
	s_lshl_b64 s[6:7], s[6:7], 2
	s_add_u32 s74, s12, s6
	s_addc_u32 s75, s13, s7
	s_cmp_lg_u64 s[20:21], 0
	s_cselect_b64 s[8:9], -1, 0
	s_ashr_i32 s7, s22, 31
	s_mov_b32 s6, s22
	s_lshl_b64 s[6:7], s[6:7], 3
	s_add_u32 s76, s20, s6
	s_addc_u32 s77, s21, s7
	v_cmp_gt_i64_e64 s[34:35], s[26:27], 0
	s_load_dword s27, s[4:5], 0x50
	s_cmp_lg_u64 s[14:15], 0
	s_cselect_b64 s[20:21], -1, 0
	s_cmp_eq_u64 s[16:17], 0
	v_and_b32_e32 v2, 0x3ff, v0
	v_bfe_u32 v3, v0, 10, 10
	v_bfe_u32 v4, v0, 20, 10
	s_cselect_b64 s[38:39], -1, 0
	v_or3_b32 v0, v3, v4, v2
	s_cmp_lg_u64 s[12:13], 0
	v_cmp_eq_u32_e64 s[6:7], 0, v0
	s_cselect_b64 s[42:43], -1, 0
	s_cmp_gt_i32 s23, 0
	v_cndmask_b32_e64 v0, 0, 1, s[8:9]
	s_mov_b64 s[30:31], 0
	s_mov_b32 s41, 0
	s_cselect_b64 s[44:45], -1, 0
	s_mov_b32 s78, s23
	v_mov_b32_e32 v1, 0
	v_cndmask_b32_e64 v5, 0, 1, s[42:43]
	v_cmp_ne_u32_e64 s[8:9], 1, v0
                                        ; implicit-def: $sgpr46_sgpr47
                                        ; implicit-def: $sgpr22_sgpr23
                                        ; implicit-def: $sgpr48_sgpr49
                                        ; implicit-def: $sgpr50_sgpr51
	s_branch .LBB33_4
.LBB33_2:                               ;   in Loop: Header=BB33_4 Depth=1
	s_or_b64 exec, exec, s[52:53]
	s_andn2_b64 s[10:11], s[50:51], exec
	s_and_b64 s[50:51], s[58:59], exec
	s_or_b64 s[50:51], s[10:11], s[50:51]
	s_andn2_b64 s[10:11], s[48:49], exec
	s_and_b64 s[12:13], s[12:13], exec
	s_or_b64 s[48:49], s[10:11], s[12:13]
	s_orn2_b64 s[12:13], s[56:57], exec
.LBB33_3:                               ;   in Loop: Header=BB33_4 Depth=1
	s_or_b64 exec, exec, s[54:55]
	s_and_b64 s[10:11], exec, s[12:13]
	s_or_b64 s[30:31], s[10:11], s[30:31]
	s_andn2_b64 s[10:11], s[22:23], exec
	s_and_b64 s[12:13], s[50:51], exec
	s_or_b64 s[22:23], s[10:11], s[12:13]
	s_andn2_b64 s[10:11], s[46:47], exec
	s_and_b64 s[12:13], s[48:49], exec
	s_or_b64 s[46:47], s[10:11], s[12:13]
	s_andn2_b64 exec, exec, s[30:31]
	s_cbranch_execz .LBB33_65
.LBB33_4:                               ; =>This Loop Header: Depth=1
                                        ;     Child Loop BB33_11 Depth 2
                                        ;     Child Loop BB33_15 Depth 2
                                        ;       Child Loop BB33_18 Depth 3
                                        ;         Child Loop BB33_22 Depth 4
                                        ;     Child Loop BB33_32 Depth 2
                                        ;     Child Loop BB33_46 Depth 2
                                        ;       Child Loop BB33_48 Depth 3
                                        ;         Child Loop BB33_53 Depth 4
                                        ;     Child Loop BB33_57 Depth 2
	s_ashr_i32 s25, s24, 31
	s_and_b64 vcc, exec, s[8:9]
	s_mov_b64 s[52:53], 0
	s_cbranch_vccnz .LBB33_6
; %bb.5:                                ;   in Loop: Header=BB33_4 Depth=1
	s_mul_i32 s10, s24, s29
	s_mul_hi_u32 s11, s24, s28
	s_add_i32 s10, s11, s10
	s_mul_i32 s11, s25, s28
	s_add_i32 s11, s10, s11
	s_mul_i32 s10, s24, s28
	s_lshl_b64 s[10:11], s[10:11], 3
	s_add_u32 s52, s76, s10
	s_addc_u32 s53, s77, s11
.LBB33_6:                               ;   in Loop: Header=BB33_4 Depth=1
	s_andn2_b64 vcc, exec, s[20:21]
	s_mov_b32 s79, s26
	s_cbranch_vccnz .LBB33_8
; %bb.7:                                ;   in Loop: Header=BB33_4 Depth=1
	s_lshl_b64 s[10:11], s[24:25], 2
	s_add_u32 s10, s14, s10
	s_addc_u32 s11, s15, s11
	global_load_dword v0, v1, s[10:11]
	s_waitcnt vmcnt(0)
	v_readfirstlane_b32 s79, v0
.LBB33_8:                               ;   in Loop: Header=BB33_4 Depth=1
	s_cmp_lt_i32 s79, 1
	s_cselect_b64 s[10:11], -1, 0
	s_or_b64 s[10:11], s[38:39], s[10:11]
	s_mov_b64 s[12:13], -1
	s_and_b64 vcc, exec, s[10:11]
	s_mov_b64 s[58:59], -1
	s_waitcnt lgkmcnt(0)
	s_barrier
	s_waitcnt lgkmcnt(0)
                                        ; implicit-def: $sgpr10_sgpr11
                                        ; implicit-def: $sgpr56_sgpr57
	s_cbranch_vccnz .LBB33_41
; %bb.9:                                ;   in Loop: Header=BB33_4 Depth=1
	s_load_dwordx2 s[10:11], s[36:37], 0xc
	s_waitcnt lgkmcnt(0)
	s_barrier
	s_lshr_b32 s40, s10, 16
	s_and_b32 s10, s10, 0xffff
	s_mul_i32 s80, s40, s10
	v_mul_u32_u24_e32 v0, s10, v3
	v_mul_lo_u32 v6, s80, v4
	v_add3_u32 v6, v0, v2, v6
	s_and_b32 s11, s11, 0xffff
	v_cmp_gt_u32_e32 vcc, s79, v6
	s_mul_i32 s80, s80, s11
	s_and_b64 s[54:55], s[42:43], vcc
	s_and_saveexec_b64 s[10:11], s[54:55]
	s_cbranch_execz .LBB33_12
; %bb.10:                               ;   in Loop: Header=BB33_4 Depth=1
	s_mov_b64 s[54:55], 0
	v_mov_b32_e32 v0, v6
.LBB33_11:                              ;   Parent Loop BB33_4 Depth=1
                                        ; =>  This Inner Loop Header: Depth=2
	v_lshlrev_b64 v[8:9], 2, v[0:1]
	v_mov_b32_e32 v7, s75
	v_add_co_u32_e32 v8, vcc, s74, v8
	v_addc_co_u32_e32 v9, vcc, v7, v9, vcc
	global_store_dword v[8:9], v0, off
	v_add_u32_e32 v0, s80, v0
	v_cmp_le_u32_e32 vcc, s79, v0
	s_or_b64 s[54:55], vcc, s[54:55]
	s_andn2_b64 exec, exec, s[54:55]
	s_cbranch_execnz .LBB33_11
.LBB33_12:                              ;   in Loop: Header=BB33_4 Depth=1
	s_or_b64 exec, exec, s[10:11]
	s_mul_i32 s10, s24, s19
	s_mul_hi_u32 s11, s24, s18
	s_add_i32 s10, s11, s10
	s_mul_i32 s11, s25, s18
	s_add_i32 s11, s10, s11
	s_mul_i32 s10, s24, s18
	s_lshl_b64 s[10:11], s[10:11], 2
	s_add_u32 s25, s16, s10
	s_addc_u32 s64, s17, s11
	s_barrier
	s_and_saveexec_b64 s[54:55], s[6:7]
	s_cbranch_execz .LBB33_28
; %bb.13:                               ;   in Loop: Header=BB33_4 Depth=1
	s_mov_b32 s40, 0
	s_branch .LBB33_15
.LBB33_14:                              ;   in Loop: Header=BB33_15 Depth=2
	s_add_i32 s40, s40, 1
	s_cmp_eq_u32 s40, 8
	s_cbranch_scc1 .LBB33_28
.LBB33_15:                              ;   Parent Loop BB33_4 Depth=1
                                        ; =>  This Loop Header: Depth=2
                                        ;       Child Loop BB33_18 Depth 3
                                        ;         Child Loop BB33_22 Depth 4
	s_lshl_b64 s[10:11], s[40:41], 2
	s_getpc_b64 s[56:57]
	s_add_u32 s56, s56, __const._ZN9rocsolver6v33100L20shell_sort_ascendingIfiEEvT0_PT_PS2_.gaps@rel32@lo+4
	s_addc_u32 s57, s57, __const._ZN9rocsolver6v33100L20shell_sort_ascendingIfiEEvT0_PT_PS2_.gaps@rel32@hi+12
	s_add_u32 s10, s10, s56
	s_addc_u32 s11, s11, s57
	s_load_dword s65, s[10:11], 0x0
	s_waitcnt lgkmcnt(0)
	s_cmp_ge_i32 s65, s79
	s_cbranch_scc1 .LBB33_14
; %bb.16:                               ;   in Loop: Header=BB33_15 Depth=2
	s_mov_b32 s66, 0
	s_mov_b32 s56, s65
	s_branch .LBB33_18
.LBB33_17:                              ;   in Loop: Header=BB33_18 Depth=3
	s_add_i32 s56, s56, 1
	s_add_i32 s66, s66, 1
	s_cmp_ge_i32 s56, s79
	s_cbranch_scc1 .LBB33_14
.LBB33_18:                              ;   Parent Loop BB33_4 Depth=1
                                        ;     Parent Loop BB33_15 Depth=2
                                        ; =>    This Loop Header: Depth=3
                                        ;         Child Loop BB33_22 Depth 4
	s_ashr_i32 s57, s56, 31
	s_lshl_b64 s[58:59], s[56:57], 2
	s_add_u32 s10, s25, s58
	s_addc_u32 s11, s64, s59
	global_load_dword v0, v1, s[10:11]
	v_cmp_ne_u32_e64 s[10:11], 1, v5
	s_andn2_b64 vcc, exec, s[42:43]
	s_cbranch_vccnz .LBB33_20
; %bb.19:                               ;   in Loop: Header=BB33_18 Depth=3
	s_add_u32 s58, s74, s58
	s_addc_u32 s59, s75, s59
	global_load_dword v7, v1, s[58:59]
	s_cmp_lt_i32 s56, s65
	s_mov_b64 s[60:61], s[56:57]
	s_mov_b32 s58, s66
	s_cbranch_scc0 .LBB33_22
	s_branch .LBB33_26
.LBB33_20:                              ;   in Loop: Header=BB33_18 Depth=3
	v_mov_b32_e32 v7, 0
	s_cmp_lt_i32 s56, s65
	s_mov_b64 s[60:61], s[56:57]
	s_mov_b32 s58, s66
	s_cbranch_scc0 .LBB33_22
	s_branch .LBB33_26
.LBB33_21:                              ;   in Loop: Header=BB33_22 Depth=4
                                        ; implicit-def: $sgpr58
	s_cbranch_execnz .LBB33_26
.LBB33_22:                              ;   Parent Loop BB33_4 Depth=1
                                        ;     Parent Loop BB33_15 Depth=2
                                        ;       Parent Loop BB33_18 Depth=3
                                        ; =>      This Inner Loop Header: Depth=4
	s_ashr_i32 s59, s58, 31
	s_add_i32 s60, s65, s58
	s_lshl_b64 s[62:63], s[58:59], 2
	s_add_u32 s68, s25, s62
	s_addc_u32 s69, s64, s63
	global_load_dword v8, v1, s[68:69]
	s_ashr_i32 s61, s60, 31
	s_waitcnt vmcnt(0)
	v_cmp_ngt_f32_e32 vcc, v8, v0
	s_cbranch_vccnz .LBB33_21
; %bb.23:                               ;   in Loop: Header=BB33_22 Depth=4
	s_lshl_b64 s[60:61], s[60:61], 2
	s_add_u32 s68, s25, s60
	s_addc_u32 s69, s64, s61
	s_and_b64 vcc, exec, s[10:11]
	global_store_dword v1, v8, s[68:69]
	s_cbranch_vccnz .LBB33_25
; %bb.24:                               ;   in Loop: Header=BB33_22 Depth=4
	s_add_u32 s60, s74, s60
	s_addc_u32 s61, s75, s61
	s_add_u32 s62, s74, s62
	s_addc_u32 s63, s75, s63
	global_load_dword v8, v1, s[62:63]
	s_waitcnt vmcnt(0)
	global_store_dword v1, v8, s[60:61]
.LBB33_25:                              ;   in Loop: Header=BB33_22 Depth=4
	s_sub_i32 s57, s58, s65
	s_cmp_lt_i32 s58, s65
	s_cselect_b64 s[62:63], -1, 0
	s_mov_b64 s[60:61], s[58:59]
	s_mov_b32 s58, s57
	s_and_b64 vcc, exec, s[62:63]
	s_cbranch_vccz .LBB33_22
.LBB33_26:                              ;   in Loop: Header=BB33_18 Depth=3
	s_lshl_b64 s[58:59], s[60:61], 2
	s_add_u32 s60, s25, s58
	s_addc_u32 s61, s64, s59
	s_and_b64 vcc, exec, s[10:11]
	s_waitcnt vmcnt(0)
	global_store_dword v1, v0, s[60:61]
	s_cbranch_vccnz .LBB33_17
; %bb.27:                               ;   in Loop: Header=BB33_18 Depth=3
	s_add_u32 s10, s74, s58
	s_addc_u32 s11, s75, s59
	global_store_dword v1, v7, s[10:11]
	s_branch .LBB33_17
.LBB33_28:                              ;   in Loop: Header=BB33_4 Depth=1
	s_or_b64 exec, exec, s[54:55]
	s_cmp_lt_i32 s79, 2
	s_cselect_b64 s[60:61], -1, 0
	s_and_b64 vcc, exec, s[60:61]
	s_barrier
	s_cbranch_vccnz .LBB33_36
; %bb.29:                               ;   in Loop: Header=BB33_4 Depth=1
	s_add_i32 s40, s79, -1
	v_cmp_gt_u32_e32 vcc, s40, v6
	s_mov_b64 s[60:61], -1
                                        ; implicit-def: $sgpr10_sgpr11
                                        ; implicit-def: $sgpr56_sgpr57
	s_and_saveexec_b64 s[54:55], vcc
	s_cbranch_execz .LBB33_38
; %bb.30:                               ;   in Loop: Header=BB33_4 Depth=1
	s_add_u32 s81, s25, 4
	s_addc_u32 s82, s64, 0
	s_mov_b64 s[56:57], 0
	v_mov_b32_e32 v7, s64
	v_mov_b32_e32 v0, v6
                                        ; implicit-def: $sgpr62_sgpr63
                                        ; implicit-def: $sgpr60_sgpr61
                                        ; implicit-def: $sgpr58_sgpr59
	s_branch .LBB33_32
.LBB33_31:                              ;   in Loop: Header=BB33_32 Depth=2
	s_or_b64 exec, exec, s[72:73]
	s_xor_b64 s[68:69], s[70:71], -1
	s_and_b64 s[10:11], exec, s[10:11]
	s_or_b64 s[56:57], s[10:11], s[56:57]
	s_andn2_b64 s[10:11], s[58:59], exec
	s_and_b64 s[58:59], s[68:69], exec
	s_or_b64 s[58:59], s[10:11], s[58:59]
	s_andn2_b64 s[10:11], s[60:61], exec
	s_and_b64 s[60:61], s[66:67], exec
	;; [unrolled: 3-line block ×3, first 2 shown]
	s_or_b64 s[62:63], s[10:11], s[62:63]
	s_andn2_b64 exec, exec, s[56:57]
	s_cbranch_execz .LBB33_37
.LBB33_32:                              ;   Parent Loop BB33_4 Depth=1
                                        ; =>  This Inner Loop Header: Depth=2
	v_lshlrev_b64 v[8:9], 2, v[0:1]
	v_add_co_u32_e32 v8, vcc, s25, v8
	v_addc_co_u32_e32 v9, vcc, v7, v9, vcc
	global_load_dword v6, v[8:9], off
                                        ; implicit-def: $sgpr66_sgpr67
                                        ; implicit-def: $sgpr64_sgpr65
	s_waitcnt vmcnt(0)
	v_cmp_u_f32_e64 s[68:69], v6, v6
	v_cmp_o_f32_e32 vcc, v6, v6
	s_and_saveexec_b64 s[70:71], vcc
	s_cbranch_execz .LBB33_34
; %bb.33:                               ;   in Loop: Header=BB33_32 Depth=2
	v_ashrrev_i32_e32 v9, 31, v0
	v_mov_b32_e32 v8, v0
	v_lshlrev_b64 v[8:9], 2, v[8:9]
	v_mov_b32_e32 v10, s82
	v_add_co_u32_e32 v8, vcc, s81, v8
	v_addc_co_u32_e32 v9, vcc, v10, v9, vcc
	global_load_dword v8, v[8:9], off
	s_andn2_b64 s[68:69], s[68:69], exec
	s_mov_b64 s[64:65], 0
	s_mov_b64 s[66:67], -1
	s_waitcnt vmcnt(0)
	v_cmp_u_f32_e32 vcc, v8, v8
	v_cmp_le_f32_e64 s[10:11], v6, v8
	s_or_b64 s[10:11], vcc, s[10:11]
	s_and_b64 s[10:11], s[10:11], exec
	s_or_b64 s[68:69], s[68:69], s[10:11]
.LBB33_34:                              ;   in Loop: Header=BB33_32 Depth=2
	s_or_b64 exec, exec, s[70:71]
	s_mov_b64 s[10:11], -1
	s_mov_b64 s[70:71], s[66:67]
	s_and_saveexec_b64 s[72:73], s[68:69]
	s_cbranch_execz .LBB33_31
; %bb.35:                               ;   in Loop: Header=BB33_32 Depth=2
	v_add_u32_e32 v0, s80, v0
	v_cmp_le_u32_e32 vcc, s40, v0
	s_andn2_b64 s[70:71], s[66:67], exec
	s_orn2_b64 s[10:11], vcc, exec
	s_branch .LBB33_31
.LBB33_36:                              ;   in Loop: Header=BB33_4 Depth=1
                                        ; implicit-def: $sgpr10_sgpr11
                                        ; implicit-def: $sgpr56_sgpr57
	s_mov_b64 s[58:59], 0
	s_and_saveexec_b64 s[54:55], s[60:61]
	s_cbranch_execnz .LBB33_39
	s_branch .LBB33_40
.LBB33_37:                              ;   in Loop: Header=BB33_4 Depth=1
	s_or_b64 exec, exec, s[56:57]
	s_and_b64 s[56:57], s[62:63], exec
	s_and_b64 s[10:11], s[60:61], exec
	s_orn2_b64 s[60:61], s[58:59], exec
.LBB33_38:                              ;   in Loop: Header=BB33_4 Depth=1
	s_or_b64 exec, exec, s[54:55]
	s_mov_b64 s[58:59], 0
	s_and_saveexec_b64 s[54:55], s[60:61]
	s_cbranch_execz .LBB33_40
.LBB33_39:                              ;   in Loop: Header=BB33_4 Depth=1
	s_mov_b64 s[58:59], exec
	s_andn2_b64 s[56:57], s[56:57], exec
	s_andn2_b64 s[10:11], s[10:11], exec
	s_barrier
.LBB33_40:                              ;   in Loop: Header=BB33_4 Depth=1
	s_or_b64 exec, exec, s[54:55]
.LBB33_41:                              ;   in Loop: Header=BB33_4 Depth=1
	s_andn2_b64 s[50:51], s[50:51], exec
	s_and_b64 s[54:55], s[56:57], exec
	s_andn2_b64 s[48:49], s[48:49], exec
	s_and_b64 s[10:11], s[10:11], exec
	s_or_b64 s[50:51], s[50:51], s[54:55]
	s_or_b64 s[48:49], s[48:49], s[10:11]
	s_and_saveexec_b64 s[54:55], s[58:59]
	s_cbranch_execz .LBB33_3
; %bb.42:                               ;   in Loop: Header=BB33_4 Depth=1
	s_cmp_lg_u64 s[52:53], 0
	s_cselect_b64 s[10:11], -1, 0
	s_and_b64 s[10:11], s[34:35], s[10:11]
	s_and_b64 s[10:11], s[44:45], s[10:11]
	;; [unrolled: 1-line block ×3, first 2 shown]
	s_mov_b64 s[56:57], -1
	s_and_b64 vcc, exec, s[10:11]
	s_mov_b64 s[10:11], -1
	s_barrier
	s_waitcnt lgkmcnt(0)
                                        ; implicit-def: $sgpr58_sgpr59
                                        ; implicit-def: $sgpr12_sgpr13
	s_cbranch_vccz .LBB33_63
; %bb.43:                               ;   in Loop: Header=BB33_4 Depth=1
	s_load_dwordx2 s[10:11], s[36:37], 0xc
	s_waitcnt lgkmcnt(0)
	s_and_b32 s11, s11, 0xffff
	s_lshr_b32 s12, s10, 16
	s_and_b32 s10, s10, 0xffff
	s_mul_i32 s66, s12, s10
	s_cmp_lt_i32 s79, 0
	v_mul_u32_u24_e32 v0, s10, v3
	v_mul_lo_u32 v6, s66, v4
	s_cselect_b32 s25, s26, s79
	v_add3_u32 v6, v0, v2, v6
	s_cmp_eq_u32 s25, 0
	s_mul_i32 s66, s66, s11
	s_cbranch_scc1 .LBB33_54
; %bb.44:                               ;   in Loop: Header=BB33_4 Depth=1
	s_mov_b32 s40, 0
	v_cmp_eq_u32_e64 s[10:11], 0, v6
	v_cmp_gt_u32_e64 s[12:13], s26, v6
	s_branch .LBB33_46
.LBB33_45:                              ;   in Loop: Header=BB33_46 Depth=2
	s_add_i32 s40, s40, 1
	s_cmp_eq_u32 s40, s25
	s_cbranch_scc1 .LBB33_54
.LBB33_46:                              ;   Parent Loop BB33_4 Depth=1
                                        ; =>  This Loop Header: Depth=2
                                        ;       Child Loop BB33_48 Depth 3
                                        ;         Child Loop BB33_53 Depth 4
	s_lshl_b64 s[58:59], s[40:41], 2
	s_add_u32 s58, s74, s58
	s_addc_u32 s59, s75, s59
	s_barrier
	s_branch .LBB33_48
.LBB33_47:                              ;   in Loop: Header=BB33_48 Depth=3
	s_or_b64 exec, exec, s[60:61]
	s_waitcnt lgkmcnt(0)
	s_barrier
.LBB33_48:                              ;   Parent Loop BB33_4 Depth=1
                                        ;     Parent Loop BB33_46 Depth=2
                                        ; =>    This Loop Header: Depth=3
                                        ;         Child Loop BB33_53 Depth 4
	global_load_dword v0, v1, s[58:59]
	s_waitcnt vmcnt(0)
	v_cmp_eq_u32_e32 vcc, s40, v0
	v_readfirstlane_b32 s62, v0
	s_cbranch_vccnz .LBB33_45
; %bb.49:                               ;   in Loop: Header=BB33_48 Depth=3
	s_ashr_i32 s63, s62, 31
	s_lshl_b64 s[60:61], s[62:63], 2
	s_add_u32 s60, s74, s60
	s_addc_u32 s61, s75, s61
	global_load_dword v0, v1, s[60:61]
	s_barrier
	s_waitcnt vmcnt(0)
	v_readfirstlane_b32 s67, v0
	s_and_saveexec_b64 s[64:65], s[10:11]
	s_cbranch_execz .LBB33_51
; %bb.50:                               ;   in Loop: Header=BB33_48 Depth=3
	v_mov_b32_e32 v0, s62
	global_store_dword v1, v0, s[60:61]
	v_mov_b32_e32 v0, s67
	global_store_dword v1, v0, s[58:59]
.LBB33_51:                              ;   in Loop: Header=BB33_48 Depth=3
	s_or_b64 exec, exec, s[64:65]
	s_barrier
	s_and_saveexec_b64 s[60:61], s[12:13]
	s_cbranch_execz .LBB33_47
; %bb.52:                               ;   in Loop: Header=BB33_48 Depth=3
	s_mul_i32 s63, s63, s78
	s_mul_hi_u32 s64, s62, s78
	s_add_i32 s63, s64, s63
	s_ashr_i32 s64, s67, 31
	s_mul_i32 s62, s62, s78
	s_mul_hi_u32 s65, s67, s78
	s_mul_i32 s64, s64, s78
	s_add_i32 s69, s65, s64
	s_lshl_b64 s[62:63], s[62:63], 3
	s_mul_i32 s68, s67, s78
	s_add_u32 s64, s52, s62
	s_addc_u32 s67, s53, s63
	s_lshl_b64 s[62:63], s[68:69], 3
	s_add_u32 s65, s52, s62
	s_addc_u32 s68, s53, s63
	s_mov_b64 s[62:63], 0
	v_mov_b32_e32 v7, s67
	v_mov_b32_e32 v8, s68
	;; [unrolled: 1-line block ×3, first 2 shown]
.LBB33_53:                              ;   Parent Loop BB33_4 Depth=1
                                        ;     Parent Loop BB33_46 Depth=2
                                        ;       Parent Loop BB33_48 Depth=3
                                        ; =>      This Inner Loop Header: Depth=4
	v_lshlrev_b64 v[10:11], 3, v[0:1]
	v_add_co_u32_e32 v12, vcc, s64, v10
	v_addc_co_u32_e32 v13, vcc, v7, v11, vcc
	v_add_co_u32_e32 v10, vcc, s65, v10
	v_addc_co_u32_e32 v11, vcc, v8, v11, vcc
	flat_load_dwordx2 v[14:15], v[10:11]
	flat_load_dwordx2 v[16:17], v[12:13]
	v_add_u32_e32 v0, s66, v0
	v_cmp_le_u32_e32 vcc, s26, v0
	s_or_b64 s[62:63], vcc, s[62:63]
	s_waitcnt vmcnt(0) lgkmcnt(0)
	flat_store_dwordx2 v[12:13], v[14:15]
	flat_store_dwordx2 v[10:11], v[16:17]
	s_andn2_b64 exec, exec, s[62:63]
	s_cbranch_execnz .LBB33_53
	s_branch .LBB33_47
.LBB33_54:                              ;   in Loop: Header=BB33_4 Depth=1
	v_cmp_gt_u32_e32 vcc, s25, v6
	s_mov_b64 s[52:53], -1
	s_barrier
	s_waitcnt lgkmcnt(0)
                                        ; implicit-def: $sgpr58_sgpr59
                                        ; implicit-def: $sgpr12_sgpr13
	s_and_saveexec_b64 s[10:11], vcc
	s_cbranch_execz .LBB33_60
; %bb.55:                               ;   in Loop: Header=BB33_4 Depth=1
	s_mov_b64 s[12:13], 0
	v_mov_b32_e32 v0, v6
                                        ; implicit-def: $sgpr52_sgpr53
                                        ; implicit-def: $sgpr60_sgpr61
                                        ; implicit-def: $sgpr58_sgpr59
	s_branch .LBB33_57
.LBB33_56:                              ;   in Loop: Header=BB33_57 Depth=2
	s_or_b64 exec, exec, s[62:63]
	s_xor_b64 s[62:63], s[58:59], -1
	s_and_b64 s[64:65], exec, s[60:61]
	s_or_b64 s[12:13], s[64:65], s[12:13]
	s_andn2_b64 s[52:53], s[52:53], exec
	s_and_b64 s[62:63], s[62:63], exec
	s_or_b64 s[52:53], s[52:53], s[62:63]
	s_andn2_b64 exec, exec, s[12:13]
	s_cbranch_execz .LBB33_59
.LBB33_57:                              ;   Parent Loop BB33_4 Depth=1
                                        ; =>  This Inner Loop Header: Depth=2
	v_lshlrev_b64 v[6:7], 2, v[0:1]
	v_mov_b32_e32 v8, s75
	v_add_co_u32_e32 v6, vcc, s74, v6
	v_addc_co_u32_e32 v7, vcc, v8, v7, vcc
	global_load_dword v6, v[6:7], off
	s_or_b64 s[58:59], s[58:59], exec
	s_or_b64 s[60:61], s[60:61], exec
	s_waitcnt vmcnt(0)
	v_cmp_eq_u32_e32 vcc, v0, v6
	s_and_saveexec_b64 s[62:63], vcc
	s_cbranch_execz .LBB33_56
; %bb.58:                               ;   in Loop: Header=BB33_57 Depth=2
	v_add_u32_e32 v0, s66, v0
	v_cmp_le_u32_e32 vcc, s25, v0
	s_andn2_b64 s[60:61], s[60:61], exec
	s_and_b64 s[64:65], vcc, exec
	s_andn2_b64 s[58:59], s[58:59], exec
	s_or_b64 s[60:61], s[60:61], s[64:65]
	s_branch .LBB33_56
.LBB33_59:                              ;   in Loop: Header=BB33_4 Depth=1
	s_or_b64 exec, exec, s[12:13]
	s_mov_b64 s[12:13], 0
	s_mov_b64 s[58:59], -1
	s_orn2_b64 s[52:53], s[52:53], exec
.LBB33_60:                              ;   in Loop: Header=BB33_4 Depth=1
	s_or_b64 exec, exec, s[10:11]
	s_mov_b64 s[10:11], 0
	s_and_saveexec_b64 s[60:61], s[52:53]
	s_cbranch_execz .LBB33_62
; %bb.61:                               ;   in Loop: Header=BB33_4 Depth=1
	s_mov_b64 s[10:11], exec
	s_barrier
	s_waitcnt lgkmcnt(0)
                                        ; implicit-def: $sgpr58_sgpr59
                                        ; implicit-def: $sgpr12_sgpr13
.LBB33_62:                              ;   in Loop: Header=BB33_4 Depth=1
	s_or_b64 exec, exec, s[60:61]
.LBB33_63:                              ;   in Loop: Header=BB33_4 Depth=1
	s_and_saveexec_b64 s[52:53], s[10:11]
	s_cbranch_execz .LBB33_2
; %bb.64:                               ;   in Loop: Header=BB33_4 Depth=1
	s_add_i32 s24, s24, s27
	s_cmp_ge_i32 s24, s33
	s_cselect_b64 s[10:11], -1, 0
	s_andn2_b64 s[58:59], s[58:59], exec
	s_andn2_b64 s[12:13], s[12:13], exec
	s_orn2_b64 s[56:57], s[10:11], exec
	s_barrier
	s_branch .LBB33_2
.LBB33_65:
	s_or_b64 exec, exec, s[30:31]
	s_xor_b64 s[6:7], s[46:47], -1
	s_mov_b64 s[26:27], 0
	s_and_saveexec_b64 s[8:9], s[6:7]
	s_xor_b64 s[28:29], exec, s[8:9]
	s_cbranch_execnz .LBB33_70
; %bb.66:
	s_andn2_saveexec_b64 s[28:29], s[28:29]
	s_cbranch_execnz .LBB33_73
.LBB33_67:
	s_or_b64 exec, exec, s[28:29]
	s_and_saveexec_b64 s[4:5], s[26:27]
.LBB33_68:
	; divergent unreachable
.LBB33_69:
	s_endpgm
.LBB33_70:
	s_mov_b64 s[6:7], 0
	s_and_saveexec_b64 s[8:9], s[22:23]
	s_xor_b64 s[26:27], exec, s[8:9]
	s_cbranch_execz .LBB33_72
; %bb.71:
	s_add_u32 s8, s4, 0x48
	s_addc_u32 s9, s5, 0
	s_getpc_b64 s[6:7]
	s_add_u32 s6, s6, .str.6@rel32@lo+4
	s_addc_u32 s7, s7, .str.6@rel32@hi+12
	s_getpc_b64 s[10:11]
	s_add_u32 s10, s10, __PRETTY_FUNCTION__._ZN9rocsolver6v33100L12permute_swapI19rocblas_complex_numIfEiEEvT0_PT_S4_PS4_S4_@rel32@lo+4
	s_addc_u32 s11, s11, __PRETTY_FUNCTION__._ZN9rocsolver6v33100L12permute_swapI19rocblas_complex_numIfEiEEvT0_PT_S4_PS4_S4_@rel32@hi+12
	v_mov_b32_e32 v0, s6
	v_mov_b32_e32 v1, s7
	;; [unrolled: 1-line block ×5, first 2 shown]
	s_getpc_b64 s[12:13]
	s_add_u32 s12, s12, __assert_fail@rel32@lo+4
	s_addc_u32 s13, s13, __assert_fail@rel32@hi+12
	s_mov_b64 s[34:35], s[4:5]
	s_swappc_b64 s[30:31], s[12:13]
	s_mov_b64 s[4:5], s[34:35]
	s_mov_b64 s[6:7], exec
.LBB33_72:
	s_or_b64 exec, exec, s[26:27]
	s_and_b64 s[26:27], s[6:7], exec
	s_andn2_saveexec_b64 s[28:29], s[28:29]
	s_cbranch_execz .LBB33_67
.LBB33_73:
	s_add_u32 s8, s4, 0x48
	s_addc_u32 s9, s5, 0
	s_getpc_b64 s[4:5]
	s_add_u32 s4, s4, .str.3@rel32@lo+4
	s_addc_u32 s5, s5, .str.3@rel32@hi+12
	s_getpc_b64 s[6:7]
	s_add_u32 s6, s6, __PRETTY_FUNCTION__._ZN9rocsolver6v33100L20shell_sort_ascendingIfiEEvT0_PT_PS2_@rel32@lo+4
	s_addc_u32 s7, s7, __PRETTY_FUNCTION__._ZN9rocsolver6v33100L20shell_sort_ascendingIfiEEvT0_PT_PS2_@rel32@hi+12
	v_mov_b32_e32 v0, s4
	v_mov_b32_e32 v1, s5
	;; [unrolled: 1-line block ×5, first 2 shown]
	s_getpc_b64 s[10:11]
	s_add_u32 s10, s10, __assert_fail@rel32@lo+4
	s_addc_u32 s11, s11, __assert_fail@rel32@hi+12
	s_swappc_b64 s[30:31], s[10:11]
	s_or_b64 s[26:27], s[26:27], exec
	s_or_b64 exec, exec, s[28:29]
	s_and_saveexec_b64 s[4:5], s[26:27]
	s_cbranch_execnz .LBB33_68
	s_branch .LBB33_69
	.section	.rodata,"a",@progbits
	.p2align	6, 0x0
	.amdhsa_kernel _ZN9rocsolver6v33100L11stedcx_sortI19rocblas_complex_numIfEfPS3_EEviPT0_lT1_iiliPiS8_
		.amdhsa_group_segment_fixed_size 0
		.amdhsa_private_segment_fixed_size 64
		.amdhsa_kernarg_size 328
		.amdhsa_user_sgpr_count 8
		.amdhsa_user_sgpr_private_segment_buffer 1
		.amdhsa_user_sgpr_dispatch_ptr 0
		.amdhsa_user_sgpr_queue_ptr 0
		.amdhsa_user_sgpr_kernarg_segment_ptr 1
		.amdhsa_user_sgpr_dispatch_id 0
		.amdhsa_user_sgpr_flat_scratch_init 1
		.amdhsa_user_sgpr_kernarg_preload_length 0
		.amdhsa_user_sgpr_kernarg_preload_offset 0
		.amdhsa_user_sgpr_private_segment_size 0
		.amdhsa_uses_dynamic_stack 0
		.amdhsa_system_sgpr_private_segment_wavefront_offset 1
		.amdhsa_system_sgpr_workgroup_id_x 1
		.amdhsa_system_sgpr_workgroup_id_y 0
		.amdhsa_system_sgpr_workgroup_id_z 1
		.amdhsa_system_sgpr_workgroup_info 0
		.amdhsa_system_vgpr_workitem_id 2
		.amdhsa_next_free_vgpr 51
		.amdhsa_next_free_sgpr 83
		.amdhsa_accum_offset 52
		.amdhsa_reserve_vcc 1
		.amdhsa_reserve_flat_scratch 1
		.amdhsa_float_round_mode_32 0
		.amdhsa_float_round_mode_16_64 0
		.amdhsa_float_denorm_mode_32 3
		.amdhsa_float_denorm_mode_16_64 3
		.amdhsa_dx10_clamp 1
		.amdhsa_ieee_mode 1
		.amdhsa_fp16_overflow 0
		.amdhsa_tg_split 0
		.amdhsa_exception_fp_ieee_invalid_op 0
		.amdhsa_exception_fp_denorm_src 0
		.amdhsa_exception_fp_ieee_div_zero 0
		.amdhsa_exception_fp_ieee_overflow 0
		.amdhsa_exception_fp_ieee_underflow 0
		.amdhsa_exception_fp_ieee_inexact 0
		.amdhsa_exception_int_div_zero 0
	.end_amdhsa_kernel
	.section	.text._ZN9rocsolver6v33100L11stedcx_sortI19rocblas_complex_numIfEfPS3_EEviPT0_lT1_iiliPiS8_,"axG",@progbits,_ZN9rocsolver6v33100L11stedcx_sortI19rocblas_complex_numIfEfPS3_EEviPT0_lT1_iiliPiS8_,comdat
.Lfunc_end33:
	.size	_ZN9rocsolver6v33100L11stedcx_sortI19rocblas_complex_numIfEfPS3_EEviPT0_lT1_iiliPiS8_, .Lfunc_end33-_ZN9rocsolver6v33100L11stedcx_sortI19rocblas_complex_numIfEfPS3_EEviPT0_lT1_iiliPiS8_
                                        ; -- End function
	.section	.AMDGPU.csdata,"",@progbits
; Kernel info:
; codeLenInByte = 2460
; NumSgprs: 89
; NumVgprs: 51
; NumAgprs: 0
; TotalNumVgprs: 51
; ScratchSize: 64
; MemoryBound: 0
; FloatMode: 240
; IeeeMode: 1
; LDSByteSize: 0 bytes/workgroup (compile time only)
; SGPRBlocks: 11
; VGPRBlocks: 6
; NumSGPRsForWavesPerEU: 89
; NumVGPRsForWavesPerEU: 51
; AccumOffset: 52
; Occupancy: 8
; WaveLimiterHint : 1
; COMPUTE_PGM_RSRC2:SCRATCH_EN: 1
; COMPUTE_PGM_RSRC2:USER_SGPR: 8
; COMPUTE_PGM_RSRC2:TRAP_HANDLER: 0
; COMPUTE_PGM_RSRC2:TGID_X_EN: 1
; COMPUTE_PGM_RSRC2:TGID_Y_EN: 0
; COMPUTE_PGM_RSRC2:TGID_Z_EN: 1
; COMPUTE_PGM_RSRC2:TIDIG_COMP_CNT: 2
; COMPUTE_PGM_RSRC3_GFX90A:ACCUM_OFFSET: 12
; COMPUTE_PGM_RSRC3_GFX90A:TG_SPLIT: 0
	.section	.text._ZN9rocsolver6v33100L16reset_batch_infoI19rocblas_complex_numIdEiiPS3_EEvT2_lT0_T1_,"axG",@progbits,_ZN9rocsolver6v33100L16reset_batch_infoI19rocblas_complex_numIdEiiPS3_EEvT2_lT0_T1_,comdat
	.globl	_ZN9rocsolver6v33100L16reset_batch_infoI19rocblas_complex_numIdEiiPS3_EEvT2_lT0_T1_ ; -- Begin function _ZN9rocsolver6v33100L16reset_batch_infoI19rocblas_complex_numIdEiiPS3_EEvT2_lT0_T1_
	.p2align	8
	.type	_ZN9rocsolver6v33100L16reset_batch_infoI19rocblas_complex_numIdEiiPS3_EEvT2_lT0_T1_,@function
_ZN9rocsolver6v33100L16reset_batch_infoI19rocblas_complex_numIdEiiPS3_EEvT2_lT0_T1_: ; @_ZN9rocsolver6v33100L16reset_batch_infoI19rocblas_complex_numIdEiiPS3_EEvT2_lT0_T1_
; %bb.0:
	s_load_dword s2, s[4:5], 0x24
	s_load_dwordx2 s[0:1], s[4:5], 0x10
	s_waitcnt lgkmcnt(0)
	s_and_b32 s2, s2, 0xffff
	s_mul_i32 s6, s6, s2
	v_add_u32_e32 v0, s6, v0
	v_cmp_gt_i32_e32 vcc, s0, v0
	s_and_saveexec_b64 s[2:3], vcc
	s_cbranch_execz .LBB34_2
; %bb.1:
	s_load_dwordx4 s[8:11], s[4:5], 0x0
	s_ashr_i32 s0, s7, 31
	v_ashrrev_i32_e32 v1, 31, v0
	v_lshlrev_b64 v[0:1], 4, v[0:1]
	s_waitcnt lgkmcnt(0)
	s_mul_i32 s3, s7, s11
	s_mul_hi_u32 s4, s7, s10
	s_mul_i32 s0, s0, s10
	s_add_i32 s3, s4, s3
	s_mul_i32 s2, s7, s10
	s_add_i32 s3, s3, s0
	s_lshl_b64 s[2:3], s[2:3], 4
	s_add_u32 s0, s8, s2
	s_addc_u32 s2, s9, s3
	v_mov_b32_e32 v2, s2
	v_add_co_u32_e32 v4, vcc, s0, v0
	v_addc_co_u32_e32 v5, vcc, v2, v1, vcc
	v_mov_b32_e32 v2, 0
	v_cvt_f64_i32_e32 v[0:1], s1
	v_mov_b32_e32 v3, v2
	global_store_dwordx4 v[4:5], v[0:3], off
.LBB34_2:
	s_endpgm
	.section	.rodata,"a",@progbits
	.p2align	6, 0x0
	.amdhsa_kernel _ZN9rocsolver6v33100L16reset_batch_infoI19rocblas_complex_numIdEiiPS3_EEvT2_lT0_T1_
		.amdhsa_group_segment_fixed_size 0
		.amdhsa_private_segment_fixed_size 0
		.amdhsa_kernarg_size 280
		.amdhsa_user_sgpr_count 6
		.amdhsa_user_sgpr_private_segment_buffer 1
		.amdhsa_user_sgpr_dispatch_ptr 0
		.amdhsa_user_sgpr_queue_ptr 0
		.amdhsa_user_sgpr_kernarg_segment_ptr 1
		.amdhsa_user_sgpr_dispatch_id 0
		.amdhsa_user_sgpr_flat_scratch_init 0
		.amdhsa_user_sgpr_kernarg_preload_length 0
		.amdhsa_user_sgpr_kernarg_preload_offset 0
		.amdhsa_user_sgpr_private_segment_size 0
		.amdhsa_uses_dynamic_stack 0
		.amdhsa_system_sgpr_private_segment_wavefront_offset 0
		.amdhsa_system_sgpr_workgroup_id_x 1
		.amdhsa_system_sgpr_workgroup_id_y 1
		.amdhsa_system_sgpr_workgroup_id_z 0
		.amdhsa_system_sgpr_workgroup_info 0
		.amdhsa_system_vgpr_workitem_id 0
		.amdhsa_next_free_vgpr 6
		.amdhsa_next_free_sgpr 12
		.amdhsa_accum_offset 8
		.amdhsa_reserve_vcc 1
		.amdhsa_reserve_flat_scratch 0
		.amdhsa_float_round_mode_32 0
		.amdhsa_float_round_mode_16_64 0
		.amdhsa_float_denorm_mode_32 3
		.amdhsa_float_denorm_mode_16_64 3
		.amdhsa_dx10_clamp 1
		.amdhsa_ieee_mode 1
		.amdhsa_fp16_overflow 0
		.amdhsa_tg_split 0
		.amdhsa_exception_fp_ieee_invalid_op 0
		.amdhsa_exception_fp_denorm_src 0
		.amdhsa_exception_fp_ieee_div_zero 0
		.amdhsa_exception_fp_ieee_overflow 0
		.amdhsa_exception_fp_ieee_underflow 0
		.amdhsa_exception_fp_ieee_inexact 0
		.amdhsa_exception_int_div_zero 0
	.end_amdhsa_kernel
	.section	.text._ZN9rocsolver6v33100L16reset_batch_infoI19rocblas_complex_numIdEiiPS3_EEvT2_lT0_T1_,"axG",@progbits,_ZN9rocsolver6v33100L16reset_batch_infoI19rocblas_complex_numIdEiiPS3_EEvT2_lT0_T1_,comdat
.Lfunc_end34:
	.size	_ZN9rocsolver6v33100L16reset_batch_infoI19rocblas_complex_numIdEiiPS3_EEvT2_lT0_T1_, .Lfunc_end34-_ZN9rocsolver6v33100L16reset_batch_infoI19rocblas_complex_numIdEiiPS3_EEvT2_lT0_T1_
                                        ; -- End function
	.section	.AMDGPU.csdata,"",@progbits
; Kernel info:
; codeLenInByte = 148
; NumSgprs: 16
; NumVgprs: 6
; NumAgprs: 0
; TotalNumVgprs: 6
; ScratchSize: 0
; MemoryBound: 0
; FloatMode: 240
; IeeeMode: 1
; LDSByteSize: 0 bytes/workgroup (compile time only)
; SGPRBlocks: 1
; VGPRBlocks: 0
; NumSGPRsForWavesPerEU: 16
; NumVGPRsForWavesPerEU: 6
; AccumOffset: 8
; Occupancy: 8
; WaveLimiterHint : 0
; COMPUTE_PGM_RSRC2:SCRATCH_EN: 0
; COMPUTE_PGM_RSRC2:USER_SGPR: 6
; COMPUTE_PGM_RSRC2:TRAP_HANDLER: 0
; COMPUTE_PGM_RSRC2:TGID_X_EN: 1
; COMPUTE_PGM_RSRC2:TGID_Y_EN: 1
; COMPUTE_PGM_RSRC2:TGID_Z_EN: 0
; COMPUTE_PGM_RSRC2:TIDIG_COMP_CNT: 0
; COMPUTE_PGM_RSRC3_GFX90A:ACCUM_OFFSET: 1
; COMPUTE_PGM_RSRC3_GFX90A:TG_SPLIT: 0
	.section	.text._ZN9rocsolver6v33100L10init_identI19rocblas_complex_numIdEPS3_EEviiT0_iil,"axG",@progbits,_ZN9rocsolver6v33100L10init_identI19rocblas_complex_numIdEPS3_EEviiT0_iil,comdat
	.globl	_ZN9rocsolver6v33100L10init_identI19rocblas_complex_numIdEPS3_EEviiT0_iil ; -- Begin function _ZN9rocsolver6v33100L10init_identI19rocblas_complex_numIdEPS3_EEviiT0_iil
	.p2align	8
	.type	_ZN9rocsolver6v33100L10init_identI19rocblas_complex_numIdEPS3_EEviiT0_iil,@function
_ZN9rocsolver6v33100L10init_identI19rocblas_complex_numIdEPS3_EEviiT0_iil: ; @_ZN9rocsolver6v33100L10init_identI19rocblas_complex_numIdEPS3_EEviiT0_iil
; %bb.0:
	s_load_dword s2, s[4:5], 0x2c
	s_load_dwordx2 s[0:1], s[4:5], 0x0
	v_and_b32_e32 v1, 0x3ff, v0
	v_bfe_u32 v0, v0, 10, 10
	s_waitcnt lgkmcnt(0)
	s_lshr_b32 s3, s2, 16
	s_and_b32 s2, s2, 0xffff
	s_mul_i32 s6, s6, s2
	s_mul_i32 s7, s7, s3
	v_add_u32_e32 v4, s6, v1
	v_add_u32_e32 v0, s7, v0
	v_cmp_gt_u32_e32 vcc, s0, v4
	v_cmp_gt_u32_e64 s[0:1], s1, v0
	s_and_b64 s[0:1], vcc, s[0:1]
	s_and_saveexec_b64 s[2:3], s[0:1]
	s_cbranch_execz .LBB35_6
; %bb.1:
	s_load_dwordx2 s[0:1], s[4:5], 0x10
	v_cmp_ne_u32_e32 vcc, v4, v0
                                        ; implicit-def: $sgpr2_sgpr3
                                        ; implicit-def: $vgpr2
	s_and_saveexec_b64 s[6:7], vcc
	s_xor_b64 s[6:7], exec, s[6:7]
	s_cbranch_execz .LBB35_3
; %bb.2:
	s_waitcnt lgkmcnt(0)
	v_mad_u64_u32 v[2:3], s[2:3], v0, s1, v[4:5]
	s_mov_b64 s[2:3], 0
                                        ; implicit-def: $vgpr4
.LBB35_3:
	s_or_saveexec_b64 s[6:7], s[6:7]
	v_pk_mov_b32 v[0:1], s[2:3], s[2:3] op_sel:[0,1]
	s_xor_b64 exec, exec, s[6:7]
	s_cbranch_execz .LBB35_5
; %bb.4:
	v_mov_b32_e32 v0, 0
	s_waitcnt lgkmcnt(0)
	v_mad_u64_u32 v[2:3], s[2:3], v4, s1, v[4:5]
	v_mov_b32_e32 v1, 0x3ff00000
.LBB35_5:
	s_or_b64 exec, exec, s[6:7]
	s_load_dwordx2 s[2:3], s[4:5], 0x18
	s_load_dwordx2 s[6:7], s[4:5], 0x8
	s_waitcnt lgkmcnt(0)
	s_ashr_i32 s1, s0, 31
	v_mov_b32_e32 v3, 0
	v_lshlrev_b64 v[4:5], 4, v[2:3]
	s_mul_i32 s3, s8, s3
	s_mul_hi_u32 s4, s8, s2
	s_mul_i32 s2, s8, s2
	s_add_i32 s3, s4, s3
	s_lshl_b64 s[2:3], s[2:3], 4
	s_add_u32 s2, s6, s2
	s_addc_u32 s3, s7, s3
	s_lshl_b64 s[0:1], s[0:1], 4
	s_add_u32 s0, s2, s0
	s_addc_u32 s1, s3, s1
	v_mov_b32_e32 v2, s1
	v_add_co_u32_e32 v4, vcc, s0, v4
	v_addc_co_u32_e32 v5, vcc, v2, v5, vcc
	v_mov_b32_e32 v2, v3
	global_store_dwordx4 v[4:5], v[0:3], off
.LBB35_6:
	s_endpgm
	.section	.rodata,"a",@progbits
	.p2align	6, 0x0
	.amdhsa_kernel _ZN9rocsolver6v33100L10init_identI19rocblas_complex_numIdEPS3_EEviiT0_iil
		.amdhsa_group_segment_fixed_size 0
		.amdhsa_private_segment_fixed_size 0
		.amdhsa_kernarg_size 288
		.amdhsa_user_sgpr_count 6
		.amdhsa_user_sgpr_private_segment_buffer 1
		.amdhsa_user_sgpr_dispatch_ptr 0
		.amdhsa_user_sgpr_queue_ptr 0
		.amdhsa_user_sgpr_kernarg_segment_ptr 1
		.amdhsa_user_sgpr_dispatch_id 0
		.amdhsa_user_sgpr_flat_scratch_init 0
		.amdhsa_user_sgpr_kernarg_preload_length 0
		.amdhsa_user_sgpr_kernarg_preload_offset 0
		.amdhsa_user_sgpr_private_segment_size 0
		.amdhsa_uses_dynamic_stack 0
		.amdhsa_system_sgpr_private_segment_wavefront_offset 0
		.amdhsa_system_sgpr_workgroup_id_x 1
		.amdhsa_system_sgpr_workgroup_id_y 1
		.amdhsa_system_sgpr_workgroup_id_z 1
		.amdhsa_system_sgpr_workgroup_info 0
		.amdhsa_system_vgpr_workitem_id 1
		.amdhsa_next_free_vgpr 6
		.amdhsa_next_free_sgpr 9
		.amdhsa_accum_offset 8
		.amdhsa_reserve_vcc 1
		.amdhsa_reserve_flat_scratch 0
		.amdhsa_float_round_mode_32 0
		.amdhsa_float_round_mode_16_64 0
		.amdhsa_float_denorm_mode_32 3
		.amdhsa_float_denorm_mode_16_64 3
		.amdhsa_dx10_clamp 1
		.amdhsa_ieee_mode 1
		.amdhsa_fp16_overflow 0
		.amdhsa_tg_split 0
		.amdhsa_exception_fp_ieee_invalid_op 0
		.amdhsa_exception_fp_denorm_src 0
		.amdhsa_exception_fp_ieee_div_zero 0
		.amdhsa_exception_fp_ieee_overflow 0
		.amdhsa_exception_fp_ieee_underflow 0
		.amdhsa_exception_fp_ieee_inexact 0
		.amdhsa_exception_int_div_zero 0
	.end_amdhsa_kernel
	.section	.text._ZN9rocsolver6v33100L10init_identI19rocblas_complex_numIdEPS3_EEviiT0_iil,"axG",@progbits,_ZN9rocsolver6v33100L10init_identI19rocblas_complex_numIdEPS3_EEviiT0_iil,comdat
.Lfunc_end35:
	.size	_ZN9rocsolver6v33100L10init_identI19rocblas_complex_numIdEPS3_EEviiT0_iil, .Lfunc_end35-_ZN9rocsolver6v33100L10init_identI19rocblas_complex_numIdEPS3_EEviiT0_iil
                                        ; -- End function
	.section	.AMDGPU.csdata,"",@progbits
; Kernel info:
; codeLenInByte = 280
; NumSgprs: 13
; NumVgprs: 6
; NumAgprs: 0
; TotalNumVgprs: 6
; ScratchSize: 0
; MemoryBound: 0
; FloatMode: 240
; IeeeMode: 1
; LDSByteSize: 0 bytes/workgroup (compile time only)
; SGPRBlocks: 1
; VGPRBlocks: 0
; NumSGPRsForWavesPerEU: 13
; NumVGPRsForWavesPerEU: 6
; AccumOffset: 8
; Occupancy: 8
; WaveLimiterHint : 0
; COMPUTE_PGM_RSRC2:SCRATCH_EN: 0
; COMPUTE_PGM_RSRC2:USER_SGPR: 6
; COMPUTE_PGM_RSRC2:TRAP_HANDLER: 0
; COMPUTE_PGM_RSRC2:TGID_X_EN: 1
; COMPUTE_PGM_RSRC2:TGID_Y_EN: 1
; COMPUTE_PGM_RSRC2:TGID_Z_EN: 1
; COMPUTE_PGM_RSRC2:TIDIG_COMP_CNT: 1
; COMPUTE_PGM_RSRC3_GFX90A:ACCUM_OFFSET: 1
; COMPUTE_PGM_RSRC3_GFX90A:TG_SPLIT: 0
	.section	.text._ZN9rocsolver6v33100L8copy_matI19rocblas_complex_numIdEdLb1EPS3_TnNSt9enable_ifIX18rocblas_is_complexIT_EEiE4typeELi0EEEvNS0_17copymat_directionEiiT2_iilPT0_13rocblas_fill_17rocblas_diagonal_,"axG",@progbits,_ZN9rocsolver6v33100L8copy_matI19rocblas_complex_numIdEdLb1EPS3_TnNSt9enable_ifIX18rocblas_is_complexIT_EEiE4typeELi0EEEvNS0_17copymat_directionEiiT2_iilPT0_13rocblas_fill_17rocblas_diagonal_,comdat
	.globl	_ZN9rocsolver6v33100L8copy_matI19rocblas_complex_numIdEdLb1EPS3_TnNSt9enable_ifIX18rocblas_is_complexIT_EEiE4typeELi0EEEvNS0_17copymat_directionEiiT2_iilPT0_13rocblas_fill_17rocblas_diagonal_ ; -- Begin function _ZN9rocsolver6v33100L8copy_matI19rocblas_complex_numIdEdLb1EPS3_TnNSt9enable_ifIX18rocblas_is_complexIT_EEiE4typeELi0EEEvNS0_17copymat_directionEiiT2_iilPT0_13rocblas_fill_17rocblas_diagonal_
	.p2align	8
	.type	_ZN9rocsolver6v33100L8copy_matI19rocblas_complex_numIdEdLb1EPS3_TnNSt9enable_ifIX18rocblas_is_complexIT_EEiE4typeELi0EEEvNS0_17copymat_directionEiiT2_iilPT0_13rocblas_fill_17rocblas_diagonal_,@function
_ZN9rocsolver6v33100L8copy_matI19rocblas_complex_numIdEdLb1EPS3_TnNSt9enable_ifIX18rocblas_is_complexIT_EEiE4typeELi0EEEvNS0_17copymat_directionEiiT2_iilPT0_13rocblas_fill_17rocblas_diagonal_: ; @_ZN9rocsolver6v33100L8copy_matI19rocblas_complex_numIdEdLb1EPS3_TnNSt9enable_ifIX18rocblas_is_complexIT_EEiE4typeELi0EEEvNS0_17copymat_directionEiiT2_iilPT0_13rocblas_fill_17rocblas_diagonal_
; %bb.0:
	s_load_dwordx4 s[12:15], s[4:5], 0x0
	s_load_dword s0, s[4:5], 0x44
	v_bfe_u32 v1, v0, 10, 10
	v_and_b32_e32 v0, 0x3ff, v0
	s_waitcnt lgkmcnt(0)
	s_lshr_b32 s1, s0, 16
	s_and_b32 s0, s0, 0xffff
	s_mul_i32 s7, s7, s1
	s_mul_i32 s6, s6, s0
	v_add_u32_e32 v1, s7, v1
	v_add_u32_e32 v0, s6, v0
	v_cmp_gt_u32_e32 vcc, s13, v0
	v_cmp_gt_u32_e64 s[0:1], s14, v1
	s_and_b64 s[0:1], s[0:1], vcc
	s_and_saveexec_b64 s[2:3], s[0:1]
	s_cbranch_execz .LBB36_16
; %bb.1:
	s_load_dwordx2 s[2:3], s[4:5], 0x30
	s_mov_b32 s9, s13
	s_waitcnt lgkmcnt(0)
	s_cmpk_lt_i32 s2, 0x7a
	s_cbranch_scc1 .LBB36_4
; %bb.2:
	s_cmpk_gt_i32 s2, 0x7a
	s_cbranch_scc0 .LBB36_5
; %bb.3:
	s_cmpk_lg_i32 s2, 0x7b
	s_mov_b64 s[6:7], -1
	s_cselect_b64 s[10:11], -1, 0
	s_cbranch_execz .LBB36_6
	s_branch .LBB36_7
.LBB36_4:
	s_mov_b64 s[10:11], 0
	s_mov_b64 s[6:7], 0
	s_cbranch_execnz .LBB36_8
	s_branch .LBB36_10
.LBB36_5:
	s_mov_b64 s[6:7], 0
	s_mov_b64 s[10:11], 0
.LBB36_6:
	v_cmp_gt_u32_e32 vcc, v0, v1
	v_cmp_le_u32_e64 s[0:1], v0, v1
	s_andn2_b64 s[6:7], s[6:7], exec
	s_and_b64 s[16:17], vcc, exec
	s_andn2_b64 s[10:11], s[10:11], exec
	s_and_b64 s[0:1], s[0:1], exec
	s_or_b64 s[6:7], s[6:7], s[16:17]
	s_or_b64 s[10:11], s[10:11], s[0:1]
.LBB36_7:
	s_branch .LBB36_10
.LBB36_8:
	s_cmpk_eq_i32 s2, 0x79
	s_mov_b64 s[10:11], -1
	s_cbranch_scc0 .LBB36_10
; %bb.9:
	v_cmp_gt_u32_e32 vcc, v1, v0
	v_cmp_le_u32_e64 s[0:1], v1, v0
	s_andn2_b64 s[6:7], s[6:7], exec
	s_and_b64 s[10:11], vcc, exec
	s_or_b64 s[6:7], s[6:7], s[10:11]
	s_orn2_b64 s[10:11], s[0:1], exec
.LBB36_10:
	s_and_saveexec_b64 s[0:1], s[10:11]
; %bb.11:
	s_cmpk_eq_i32 s3, 0x83
	s_cselect_b64 s[2:3], -1, 0
	v_cmp_eq_u32_e32 vcc, v0, v1
	s_and_b64 s[2:3], s[2:3], vcc
	s_andn2_b64 s[6:7], s[6:7], exec
	s_and_b64 s[2:3], s[2:3], exec
	s_or_b64 s[6:7], s[6:7], s[2:3]
; %bb.12:
	s_or_b64 exec, exec, s[0:1]
	s_and_b64 exec, exec, s[6:7]
	s_cbranch_execz .LBB36_16
; %bb.13:
	s_load_dwordx8 s[0:7], s[4:5], 0x10
	s_ashr_i32 s15, s13, 31
	s_ashr_i32 s16, s14, 31
	s_mul_i32 s15, s15, s8
	s_waitcnt lgkmcnt(0)
	s_ashr_i32 s11, s2, 31
	s_mov_b32 s10, s2
	s_mul_i32 s2, s8, s5
	s_mul_hi_u32 s5, s8, s4
	s_add_i32 s5, s5, s2
	s_mul_i32 s4, s8, s4
	s_lshl_b64 s[4:5], s[4:5], 4
	s_add_u32 s2, s0, s4
	s_addc_u32 s4, s1, s5
	s_lshl_b64 s[0:1], s[10:11], 4
	s_add_u32 s2, s2, s0
	s_mul_hi_u32 s0, s13, s8
	s_mul_i32 s5, s13, s8
	s_addc_u32 s4, s4, s1
	s_add_i32 s0, s0, s15
	s_mul_i32 s1, s5, s16
	s_mul_hi_u32 s8, s5, s14
	s_add_i32 s1, s8, s1
	s_mul_i32 s0, s0, s14
	s_add_i32 s1, s1, s0
	s_mul_i32 s0, s5, s14
	s_lshl_b64 s[0:1], s[0:1], 3
	s_add_u32 s5, s6, s0
	s_addc_u32 s6, s7, s1
	s_cmp_lg_u32 s12, 0
	s_cbranch_scc0 .LBB36_17
; %bb.14:
	v_mad_u64_u32 v[2:3], s[0:1], v1, s9, v[0:1]
	v_mov_b32_e32 v3, 0
	v_lshlrev_b64 v[4:5], 3, v[2:3]
	v_mov_b32_e32 v2, s6
	v_add_co_u32_e32 v4, vcc, s5, v4
	v_addc_co_u32_e32 v5, vcc, v2, v5, vcc
	global_load_dwordx2 v[4:5], v[4:5], off
	v_mad_u64_u32 v[6:7], s[0:1], v1, s3, v[0:1]
	v_mov_b32_e32 v7, v3
	v_lshlrev_b64 v[2:3], 4, v[6:7]
	v_mov_b32_e32 v8, s4
	v_add_co_u32_e32 v2, vcc, s2, v2
	v_addc_co_u32_e32 v3, vcc, v8, v3, vcc
	s_waitcnt vmcnt(0)
	global_store_dwordx2 v[2:3], v[4:5], off
	s_cbranch_execnz .LBB36_16
.LBB36_15:
	v_mad_u64_u32 v[2:3], s[0:1], v1, s3, v[0:1]
	v_mov_b32_e32 v3, 0
	v_lshlrev_b64 v[4:5], 4, v[2:3]
	v_mov_b32_e32 v2, s4
	v_add_co_u32_e32 v4, vcc, s2, v4
	v_addc_co_u32_e32 v5, vcc, v2, v5, vcc
	global_load_dwordx2 v[4:5], v[4:5], off
	v_mad_u64_u32 v[0:1], s[0:1], v1, s9, v[0:1]
	v_mov_b32_e32 v1, v3
	v_lshlrev_b64 v[0:1], 3, v[0:1]
	v_mov_b32_e32 v2, s6
	v_add_co_u32_e32 v0, vcc, s5, v0
	v_addc_co_u32_e32 v1, vcc, v2, v1, vcc
	s_waitcnt vmcnt(0)
	global_store_dwordx2 v[0:1], v[4:5], off
.LBB36_16:
	s_endpgm
.LBB36_17:
	s_branch .LBB36_15
	.section	.rodata,"a",@progbits
	.p2align	6, 0x0
	.amdhsa_kernel _ZN9rocsolver6v33100L8copy_matI19rocblas_complex_numIdEdLb1EPS3_TnNSt9enable_ifIX18rocblas_is_complexIT_EEiE4typeELi0EEEvNS0_17copymat_directionEiiT2_iilPT0_13rocblas_fill_17rocblas_diagonal_
		.amdhsa_group_segment_fixed_size 0
		.amdhsa_private_segment_fixed_size 0
		.amdhsa_kernarg_size 312
		.amdhsa_user_sgpr_count 6
		.amdhsa_user_sgpr_private_segment_buffer 1
		.amdhsa_user_sgpr_dispatch_ptr 0
		.amdhsa_user_sgpr_queue_ptr 0
		.amdhsa_user_sgpr_kernarg_segment_ptr 1
		.amdhsa_user_sgpr_dispatch_id 0
		.amdhsa_user_sgpr_flat_scratch_init 0
		.amdhsa_user_sgpr_kernarg_preload_length 0
		.amdhsa_user_sgpr_kernarg_preload_offset 0
		.amdhsa_user_sgpr_private_segment_size 0
		.amdhsa_uses_dynamic_stack 0
		.amdhsa_system_sgpr_private_segment_wavefront_offset 0
		.amdhsa_system_sgpr_workgroup_id_x 1
		.amdhsa_system_sgpr_workgroup_id_y 1
		.amdhsa_system_sgpr_workgroup_id_z 1
		.amdhsa_system_sgpr_workgroup_info 0
		.amdhsa_system_vgpr_workitem_id 1
		.amdhsa_next_free_vgpr 9
		.amdhsa_next_free_sgpr 18
		.amdhsa_accum_offset 12
		.amdhsa_reserve_vcc 1
		.amdhsa_reserve_flat_scratch 0
		.amdhsa_float_round_mode_32 0
		.amdhsa_float_round_mode_16_64 0
		.amdhsa_float_denorm_mode_32 3
		.amdhsa_float_denorm_mode_16_64 3
		.amdhsa_dx10_clamp 1
		.amdhsa_ieee_mode 1
		.amdhsa_fp16_overflow 0
		.amdhsa_tg_split 0
		.amdhsa_exception_fp_ieee_invalid_op 0
		.amdhsa_exception_fp_denorm_src 0
		.amdhsa_exception_fp_ieee_div_zero 0
		.amdhsa_exception_fp_ieee_overflow 0
		.amdhsa_exception_fp_ieee_underflow 0
		.amdhsa_exception_fp_ieee_inexact 0
		.amdhsa_exception_int_div_zero 0
	.end_amdhsa_kernel
	.section	.text._ZN9rocsolver6v33100L8copy_matI19rocblas_complex_numIdEdLb1EPS3_TnNSt9enable_ifIX18rocblas_is_complexIT_EEiE4typeELi0EEEvNS0_17copymat_directionEiiT2_iilPT0_13rocblas_fill_17rocblas_diagonal_,"axG",@progbits,_ZN9rocsolver6v33100L8copy_matI19rocblas_complex_numIdEdLb1EPS3_TnNSt9enable_ifIX18rocblas_is_complexIT_EEiE4typeELi0EEEvNS0_17copymat_directionEiiT2_iilPT0_13rocblas_fill_17rocblas_diagonal_,comdat
.Lfunc_end36:
	.size	_ZN9rocsolver6v33100L8copy_matI19rocblas_complex_numIdEdLb1EPS3_TnNSt9enable_ifIX18rocblas_is_complexIT_EEiE4typeELi0EEEvNS0_17copymat_directionEiiT2_iilPT0_13rocblas_fill_17rocblas_diagonal_, .Lfunc_end36-_ZN9rocsolver6v33100L8copy_matI19rocblas_complex_numIdEdLb1EPS3_TnNSt9enable_ifIX18rocblas_is_complexIT_EEiE4typeELi0EEEvNS0_17copymat_directionEiiT2_iilPT0_13rocblas_fill_17rocblas_diagonal_
                                        ; -- End function
	.section	.AMDGPU.csdata,"",@progbits
; Kernel info:
; codeLenInByte = 596
; NumSgprs: 22
; NumVgprs: 9
; NumAgprs: 0
; TotalNumVgprs: 9
; ScratchSize: 0
; MemoryBound: 0
; FloatMode: 240
; IeeeMode: 1
; LDSByteSize: 0 bytes/workgroup (compile time only)
; SGPRBlocks: 2
; VGPRBlocks: 1
; NumSGPRsForWavesPerEU: 22
; NumVGPRsForWavesPerEU: 9
; AccumOffset: 12
; Occupancy: 8
; WaveLimiterHint : 0
; COMPUTE_PGM_RSRC2:SCRATCH_EN: 0
; COMPUTE_PGM_RSRC2:USER_SGPR: 6
; COMPUTE_PGM_RSRC2:TRAP_HANDLER: 0
; COMPUTE_PGM_RSRC2:TGID_X_EN: 1
; COMPUTE_PGM_RSRC2:TGID_Y_EN: 1
; COMPUTE_PGM_RSRC2:TGID_Z_EN: 1
; COMPUTE_PGM_RSRC2:TIDIG_COMP_CNT: 1
; COMPUTE_PGM_RSRC3_GFX90A:ACCUM_OFFSET: 2
; COMPUTE_PGM_RSRC3_GFX90A:TG_SPLIT: 0
	.section	.text._ZN9rocsolver6v33100L8copy_matI19rocblas_complex_numIdEdLb0EPS3_TnNSt9enable_ifIX18rocblas_is_complexIT_EEiE4typeELi0EEEvNS0_17copymat_directionEiiT2_iilPT0_13rocblas_fill_17rocblas_diagonal_,"axG",@progbits,_ZN9rocsolver6v33100L8copy_matI19rocblas_complex_numIdEdLb0EPS3_TnNSt9enable_ifIX18rocblas_is_complexIT_EEiE4typeELi0EEEvNS0_17copymat_directionEiiT2_iilPT0_13rocblas_fill_17rocblas_diagonal_,comdat
	.globl	_ZN9rocsolver6v33100L8copy_matI19rocblas_complex_numIdEdLb0EPS3_TnNSt9enable_ifIX18rocblas_is_complexIT_EEiE4typeELi0EEEvNS0_17copymat_directionEiiT2_iilPT0_13rocblas_fill_17rocblas_diagonal_ ; -- Begin function _ZN9rocsolver6v33100L8copy_matI19rocblas_complex_numIdEdLb0EPS3_TnNSt9enable_ifIX18rocblas_is_complexIT_EEiE4typeELi0EEEvNS0_17copymat_directionEiiT2_iilPT0_13rocblas_fill_17rocblas_diagonal_
	.p2align	8
	.type	_ZN9rocsolver6v33100L8copy_matI19rocblas_complex_numIdEdLb0EPS3_TnNSt9enable_ifIX18rocblas_is_complexIT_EEiE4typeELi0EEEvNS0_17copymat_directionEiiT2_iilPT0_13rocblas_fill_17rocblas_diagonal_,@function
_ZN9rocsolver6v33100L8copy_matI19rocblas_complex_numIdEdLb0EPS3_TnNSt9enable_ifIX18rocblas_is_complexIT_EEiE4typeELi0EEEvNS0_17copymat_directionEiiT2_iilPT0_13rocblas_fill_17rocblas_diagonal_: ; @_ZN9rocsolver6v33100L8copy_matI19rocblas_complex_numIdEdLb0EPS3_TnNSt9enable_ifIX18rocblas_is_complexIT_EEiE4typeELi0EEEvNS0_17copymat_directionEiiT2_iilPT0_13rocblas_fill_17rocblas_diagonal_
; %bb.0:
	s_load_dwordx4 s[12:15], s[4:5], 0x0
	s_load_dword s0, s[4:5], 0x44
	v_bfe_u32 v1, v0, 10, 10
	v_and_b32_e32 v0, 0x3ff, v0
	s_waitcnt lgkmcnt(0)
	s_lshr_b32 s1, s0, 16
	s_and_b32 s0, s0, 0xffff
	s_mul_i32 s7, s7, s1
	s_mul_i32 s6, s6, s0
	v_add_u32_e32 v1, s7, v1
	v_add_u32_e32 v0, s6, v0
	v_cmp_gt_u32_e32 vcc, s13, v0
	v_cmp_gt_u32_e64 s[0:1], s14, v1
	s_and_b64 s[0:1], s[0:1], vcc
	s_and_saveexec_b64 s[2:3], s[0:1]
	s_cbranch_execz .LBB37_16
; %bb.1:
	s_load_dwordx2 s[2:3], s[4:5], 0x30
	s_mov_b32 s9, s13
	s_waitcnt lgkmcnt(0)
	s_cmpk_lt_i32 s2, 0x7a
	s_cbranch_scc1 .LBB37_4
; %bb.2:
	s_cmpk_gt_i32 s2, 0x7a
	s_cbranch_scc0 .LBB37_5
; %bb.3:
	s_cmpk_lg_i32 s2, 0x7b
	s_mov_b64 s[6:7], -1
	s_cselect_b64 s[10:11], -1, 0
	s_cbranch_execz .LBB37_6
	s_branch .LBB37_7
.LBB37_4:
	s_mov_b64 s[10:11], 0
	s_mov_b64 s[6:7], 0
	s_cbranch_execnz .LBB37_8
	s_branch .LBB37_10
.LBB37_5:
	s_mov_b64 s[6:7], 0
	s_mov_b64 s[10:11], 0
.LBB37_6:
	v_cmp_gt_u32_e32 vcc, v0, v1
	v_cmp_le_u32_e64 s[0:1], v0, v1
	s_andn2_b64 s[6:7], s[6:7], exec
	s_and_b64 s[16:17], vcc, exec
	s_andn2_b64 s[10:11], s[10:11], exec
	s_and_b64 s[0:1], s[0:1], exec
	s_or_b64 s[6:7], s[6:7], s[16:17]
	s_or_b64 s[10:11], s[10:11], s[0:1]
.LBB37_7:
	s_branch .LBB37_10
.LBB37_8:
	s_cmpk_eq_i32 s2, 0x79
	s_mov_b64 s[10:11], -1
	s_cbranch_scc0 .LBB37_10
; %bb.9:
	v_cmp_gt_u32_e32 vcc, v1, v0
	v_cmp_le_u32_e64 s[0:1], v1, v0
	s_andn2_b64 s[6:7], s[6:7], exec
	s_and_b64 s[10:11], vcc, exec
	s_or_b64 s[6:7], s[6:7], s[10:11]
	s_orn2_b64 s[10:11], s[0:1], exec
.LBB37_10:
	s_and_saveexec_b64 s[0:1], s[10:11]
; %bb.11:
	s_cmpk_eq_i32 s3, 0x83
	s_cselect_b64 s[2:3], -1, 0
	v_cmp_eq_u32_e32 vcc, v0, v1
	s_and_b64 s[2:3], s[2:3], vcc
	s_andn2_b64 s[6:7], s[6:7], exec
	s_and_b64 s[2:3], s[2:3], exec
	s_or_b64 s[6:7], s[6:7], s[2:3]
; %bb.12:
	s_or_b64 exec, exec, s[0:1]
	s_and_b64 exec, exec, s[6:7]
	s_cbranch_execz .LBB37_16
; %bb.13:
	s_load_dwordx8 s[16:23], s[4:5], 0x10
	s_ashr_i32 s4, s13, 31
	s_ashr_i32 s5, s14, 31
	s_mul_i32 s4, s4, s8
	s_waitcnt lgkmcnt(0)
	s_mul_i32 s2, s8, s21
	s_mul_hi_u32 s3, s8, s20
	s_add_i32 s3, s3, s2
	s_mul_i32 s2, s8, s20
	s_ashr_i32 s1, s18, 31
	s_lshl_b64 s[2:3], s[2:3], 4
	s_mov_b32 s0, s18
	s_add_u32 s2, s16, s2
	s_addc_u32 s3, s17, s3
	s_lshl_b64 s[0:1], s[0:1], 4
	s_add_u32 s2, s2, s0
	s_mul_hi_u32 s0, s13, s8
	s_addc_u32 s3, s3, s1
	s_add_i32 s0, s0, s4
	s_mul_i32 s4, s13, s8
	s_mul_i32 s1, s4, s5
	s_mul_hi_u32 s5, s4, s14
	s_add_i32 s1, s5, s1
	s_mul_i32 s0, s0, s14
	s_add_i32 s1, s1, s0
	s_mul_i32 s0, s4, s14
	s_lshl_b64 s[0:1], s[0:1], 3
	s_add_u32 s4, s22, s0
	s_addc_u32 s5, s23, s1
	v_mad_u64_u32 v[4:5], s[0:1], v1, s19, v[0:1]
	v_mov_b32_e32 v5, 0
	s_cmp_lg_u32 s12, 0
	v_lshlrev_b64 v[2:3], 4, v[4:5]
	s_cbranch_scc0 .LBB37_17
; %bb.14:
	v_mad_u64_u32 v[6:7], s[0:1], v1, s9, v[0:1]
	v_mov_b32_e32 v7, v5
	v_lshlrev_b64 v[4:5], 3, v[6:7]
	v_mov_b32_e32 v6, s5
	v_add_co_u32_e32 v4, vcc, s4, v4
	v_addc_co_u32_e32 v5, vcc, v6, v5, vcc
	global_load_dwordx2 v[4:5], v[4:5], off
	v_mov_b32_e32 v7, s3
	v_add_co_u32_e32 v6, vcc, s2, v2
	v_addc_co_u32_e32 v7, vcc, v7, v3, vcc
	s_waitcnt vmcnt(0)
	global_store_dwordx2 v[6:7], v[4:5], off offset:8
	s_cbranch_execnz .LBB37_16
.LBB37_15:
	v_mov_b32_e32 v4, s3
	v_add_co_u32_e32 v2, vcc, s2, v2
	v_addc_co_u32_e32 v3, vcc, v4, v3, vcc
	global_load_dwordx2 v[2:3], v[2:3], off offset:8
	v_mad_u64_u32 v[0:1], s[0:1], v1, s9, v[0:1]
	v_mov_b32_e32 v1, 0
	v_lshlrev_b64 v[0:1], 3, v[0:1]
	v_mov_b32_e32 v4, s5
	v_add_co_u32_e32 v0, vcc, s4, v0
	v_addc_co_u32_e32 v1, vcc, v4, v1, vcc
	s_waitcnt vmcnt(0)
	global_store_dwordx2 v[0:1], v[2:3], off
.LBB37_16:
	s_endpgm
.LBB37_17:
	s_branch .LBB37_15
	.section	.rodata,"a",@progbits
	.p2align	6, 0x0
	.amdhsa_kernel _ZN9rocsolver6v33100L8copy_matI19rocblas_complex_numIdEdLb0EPS3_TnNSt9enable_ifIX18rocblas_is_complexIT_EEiE4typeELi0EEEvNS0_17copymat_directionEiiT2_iilPT0_13rocblas_fill_17rocblas_diagonal_
		.amdhsa_group_segment_fixed_size 0
		.amdhsa_private_segment_fixed_size 0
		.amdhsa_kernarg_size 312
		.amdhsa_user_sgpr_count 6
		.amdhsa_user_sgpr_private_segment_buffer 1
		.amdhsa_user_sgpr_dispatch_ptr 0
		.amdhsa_user_sgpr_queue_ptr 0
		.amdhsa_user_sgpr_kernarg_segment_ptr 1
		.amdhsa_user_sgpr_dispatch_id 0
		.amdhsa_user_sgpr_flat_scratch_init 0
		.amdhsa_user_sgpr_kernarg_preload_length 0
		.amdhsa_user_sgpr_kernarg_preload_offset 0
		.amdhsa_user_sgpr_private_segment_size 0
		.amdhsa_uses_dynamic_stack 0
		.amdhsa_system_sgpr_private_segment_wavefront_offset 0
		.amdhsa_system_sgpr_workgroup_id_x 1
		.amdhsa_system_sgpr_workgroup_id_y 1
		.amdhsa_system_sgpr_workgroup_id_z 1
		.amdhsa_system_sgpr_workgroup_info 0
		.amdhsa_system_vgpr_workitem_id 1
		.amdhsa_next_free_vgpr 8
		.amdhsa_next_free_sgpr 24
		.amdhsa_accum_offset 8
		.amdhsa_reserve_vcc 1
		.amdhsa_reserve_flat_scratch 0
		.amdhsa_float_round_mode_32 0
		.amdhsa_float_round_mode_16_64 0
		.amdhsa_float_denorm_mode_32 3
		.amdhsa_float_denorm_mode_16_64 3
		.amdhsa_dx10_clamp 1
		.amdhsa_ieee_mode 1
		.amdhsa_fp16_overflow 0
		.amdhsa_tg_split 0
		.amdhsa_exception_fp_ieee_invalid_op 0
		.amdhsa_exception_fp_denorm_src 0
		.amdhsa_exception_fp_ieee_div_zero 0
		.amdhsa_exception_fp_ieee_overflow 0
		.amdhsa_exception_fp_ieee_underflow 0
		.amdhsa_exception_fp_ieee_inexact 0
		.amdhsa_exception_int_div_zero 0
	.end_amdhsa_kernel
	.section	.text._ZN9rocsolver6v33100L8copy_matI19rocblas_complex_numIdEdLb0EPS3_TnNSt9enable_ifIX18rocblas_is_complexIT_EEiE4typeELi0EEEvNS0_17copymat_directionEiiT2_iilPT0_13rocblas_fill_17rocblas_diagonal_,"axG",@progbits,_ZN9rocsolver6v33100L8copy_matI19rocblas_complex_numIdEdLb0EPS3_TnNSt9enable_ifIX18rocblas_is_complexIT_EEiE4typeELi0EEEvNS0_17copymat_directionEiiT2_iilPT0_13rocblas_fill_17rocblas_diagonal_,comdat
.Lfunc_end37:
	.size	_ZN9rocsolver6v33100L8copy_matI19rocblas_complex_numIdEdLb0EPS3_TnNSt9enable_ifIX18rocblas_is_complexIT_EEiE4typeELi0EEEvNS0_17copymat_directionEiiT2_iilPT0_13rocblas_fill_17rocblas_diagonal_, .Lfunc_end37-_ZN9rocsolver6v33100L8copy_matI19rocblas_complex_numIdEdLb0EPS3_TnNSt9enable_ifIX18rocblas_is_complexIT_EEiE4typeELi0EEEvNS0_17copymat_directionEiiT2_iilPT0_13rocblas_fill_17rocblas_diagonal_
                                        ; -- End function
	.section	.AMDGPU.csdata,"",@progbits
; Kernel info:
; codeLenInByte = 576
; NumSgprs: 28
; NumVgprs: 8
; NumAgprs: 0
; TotalNumVgprs: 8
; ScratchSize: 0
; MemoryBound: 0
; FloatMode: 240
; IeeeMode: 1
; LDSByteSize: 0 bytes/workgroup (compile time only)
; SGPRBlocks: 3
; VGPRBlocks: 0
; NumSGPRsForWavesPerEU: 28
; NumVGPRsForWavesPerEU: 8
; AccumOffset: 8
; Occupancy: 8
; WaveLimiterHint : 0
; COMPUTE_PGM_RSRC2:SCRATCH_EN: 0
; COMPUTE_PGM_RSRC2:USER_SGPR: 6
; COMPUTE_PGM_RSRC2:TRAP_HANDLER: 0
; COMPUTE_PGM_RSRC2:TGID_X_EN: 1
; COMPUTE_PGM_RSRC2:TGID_Y_EN: 1
; COMPUTE_PGM_RSRC2:TGID_Z_EN: 1
; COMPUTE_PGM_RSRC2:TIDIG_COMP_CNT: 1
; COMPUTE_PGM_RSRC3_GFX90A:ACCUM_OFFSET: 1
; COMPUTE_PGM_RSRC3_GFX90A:TG_SPLIT: 0
	.section	.text._ZN9rocsolver6v33100L11stedcx_sortI19rocblas_complex_numIdEdPS3_EEviPT0_lT1_iiliPiS8_,"axG",@progbits,_ZN9rocsolver6v33100L11stedcx_sortI19rocblas_complex_numIdEdPS3_EEviPT0_lT1_iiliPiS8_,comdat
	.globl	_ZN9rocsolver6v33100L11stedcx_sortI19rocblas_complex_numIdEdPS3_EEviPT0_lT1_iiliPiS8_ ; -- Begin function _ZN9rocsolver6v33100L11stedcx_sortI19rocblas_complex_numIdEdPS3_EEviPT0_lT1_iiliPiS8_
	.p2align	8
	.type	_ZN9rocsolver6v33100L11stedcx_sortI19rocblas_complex_numIdEdPS3_EEviPT0_lT1_iiliPiS8_,@function
_ZN9rocsolver6v33100L11stedcx_sortI19rocblas_complex_numIdEdPS3_EEviPT0_lT1_iiliPiS8_: ; @_ZN9rocsolver6v33100L11stedcx_sortI19rocblas_complex_numIdEdPS3_EEviPT0_lT1_iiliPiS8_
; %bb.0:
	s_load_dword s33, s[6:7], 0x30
	s_add_u32 flat_scratch_lo, s8, s12
	s_addc_u32 flat_scratch_hi, s9, 0
	s_add_u32 s0, s0, s12
	s_addc_u32 s1, s1, 0
	s_waitcnt lgkmcnt(0)
	s_cmp_ge_i32 s11, s33
	s_mov_b32 s32, 0
	s_cbranch_scc1 .LBB38_69
; %bb.1:
	s_load_dword s26, s[6:7], 0x0
	s_load_dwordx8 s[16:23], s[6:7], 0x8
	s_load_dwordx2 s[8:9], s[4:5], 0x4
	s_load_dwordx2 s[28:29], s[6:7], 0x28
	s_load_dwordx4 s[12:15], s[6:7], 0x38
	s_waitcnt lgkmcnt(0)
	s_ashr_i32 s27, s26, 31
	v_and_b32_e32 v6, 0x3ff, v0
	s_lshr_b32 s4, s8, 16
	s_mul_i32 s4, s4, s9
	v_bfe_u32 v7, v0, 10, 10
	v_bfe_u32 v8, v0, 20, 10
	v_mul_lo_u32 v0, s4, v6
	s_add_u32 s36, s6, 0x48
	s_mul_hi_i32 s5, s26, s11
	s_mul_i32 s4, s26, s11
	s_addc_u32 s37, s7, 0
	s_lshl_b64 s[4:5], s[4:5], 2
	s_add_u32 s74, s12, s4
	s_addc_u32 s75, s13, s5
	s_cmp_lg_u64 s[20:21], 0
	v_mad_u32_u24 v0, v7, s9, v0
	s_cselect_b64 s[8:9], -1, 0
	s_ashr_i32 s5, s22, 31
	s_mov_b32 s4, s22
	s_lshl_b64 s[4:5], s[4:5], 4
	s_add_u32 s76, s20, s4
	s_addc_u32 s77, s21, s5
	v_cmp_gt_i64_e64 s[34:35], s[26:27], 0
	s_load_dword s27, s[6:7], 0x50
	s_cmp_lg_u64 s[14:15], 0
	s_cselect_b64 s[20:21], -1, 0
	s_cmp_eq_u64 s[16:17], 0
	v_add_lshl_u32 v9, v0, v8, 4
	s_cselect_b64 s[38:39], -1, 0
	v_or3_b32 v0, v7, v8, v6
	s_cmp_lg_u64 s[12:13], 0
	v_cmp_eq_u32_e64 s[4:5], 0, v0
	s_cselect_b64 s[42:43], -1, 0
	s_cmp_gt_i32 s23, 0
	v_cndmask_b32_e64 v0, 0, 1, s[8:9]
	s_mov_b32 s24, s11
	s_mov_b64 s[30:31], 0
	s_mov_b32 s41, 0
	s_cselect_b64 s[44:45], -1, 0
	s_mov_b32 s78, s23
	v_mov_b32_e32 v1, 0
	v_cndmask_b32_e64 v10, 0, 1, s[42:43]
	v_cmp_ne_u32_e64 s[8:9], 1, v0
                                        ; implicit-def: $sgpr46_sgpr47
                                        ; implicit-def: $sgpr22_sgpr23
                                        ; implicit-def: $sgpr48_sgpr49
                                        ; implicit-def: $sgpr50_sgpr51
	s_branch .LBB38_4
.LBB38_2:                               ;   in Loop: Header=BB38_4 Depth=1
	s_or_b64 exec, exec, s[52:53]
	s_andn2_b64 s[10:11], s[50:51], exec
	s_and_b64 s[50:51], s[58:59], exec
	s_or_b64 s[50:51], s[10:11], s[50:51]
	s_andn2_b64 s[10:11], s[48:49], exec
	s_and_b64 s[12:13], s[12:13], exec
	s_or_b64 s[48:49], s[10:11], s[12:13]
	s_orn2_b64 s[12:13], s[56:57], exec
.LBB38_3:                               ;   in Loop: Header=BB38_4 Depth=1
	s_or_b64 exec, exec, s[54:55]
	s_and_b64 s[10:11], exec, s[12:13]
	s_or_b64 s[30:31], s[10:11], s[30:31]
	s_andn2_b64 s[10:11], s[22:23], exec
	s_and_b64 s[12:13], s[50:51], exec
	s_or_b64 s[22:23], s[10:11], s[12:13]
	s_andn2_b64 s[10:11], s[46:47], exec
	s_and_b64 s[12:13], s[48:49], exec
	s_or_b64 s[46:47], s[10:11], s[12:13]
	s_andn2_b64 exec, exec, s[30:31]
	s_cbranch_execz .LBB38_65
.LBB38_4:                               ; =>This Loop Header: Depth=1
                                        ;     Child Loop BB38_11 Depth 2
                                        ;     Child Loop BB38_15 Depth 2
                                        ;       Child Loop BB38_18 Depth 3
                                        ;         Child Loop BB38_22 Depth 4
                                        ;     Child Loop BB38_32 Depth 2
                                        ;     Child Loop BB38_46 Depth 2
                                        ;       Child Loop BB38_48 Depth 3
                                        ;         Child Loop BB38_53 Depth 4
                                        ;     Child Loop BB38_57 Depth 2
	s_ashr_i32 s25, s24, 31
	s_and_b64 vcc, exec, s[8:9]
	s_mov_b64 s[52:53], 0
	s_cbranch_vccnz .LBB38_6
; %bb.5:                                ;   in Loop: Header=BB38_4 Depth=1
	s_mul_i32 s10, s24, s29
	s_mul_hi_u32 s11, s24, s28
	s_add_i32 s10, s11, s10
	s_mul_i32 s11, s25, s28
	s_add_i32 s11, s10, s11
	s_mul_i32 s10, s24, s28
	s_lshl_b64 s[10:11], s[10:11], 4
	s_add_u32 s52, s76, s10
	s_addc_u32 s53, s77, s11
.LBB38_6:                               ;   in Loop: Header=BB38_4 Depth=1
	s_andn2_b64 vcc, exec, s[20:21]
	s_mov_b32 s79, s26
	s_cbranch_vccnz .LBB38_8
; %bb.7:                                ;   in Loop: Header=BB38_4 Depth=1
	s_lshl_b64 s[10:11], s[24:25], 2
	s_add_u32 s10, s14, s10
	s_addc_u32 s11, s15, s11
	global_load_dword v0, v1, s[10:11]
	s_waitcnt vmcnt(0)
	v_readfirstlane_b32 s79, v0
.LBB38_8:                               ;   in Loop: Header=BB38_4 Depth=1
	s_cmp_lt_i32 s79, 1
	s_cselect_b64 s[10:11], -1, 0
	s_or_b64 s[10:11], s[38:39], s[10:11]
	s_mov_b64 s[12:13], -1
	s_and_b64 vcc, exec, s[10:11]
	s_mov_b64 s[58:59], -1
	s_waitcnt lgkmcnt(0)
	s_barrier
	s_waitcnt lgkmcnt(0)
                                        ; implicit-def: $sgpr10_sgpr11
                                        ; implicit-def: $sgpr56_sgpr57
	s_cbranch_vccnz .LBB38_41
; %bb.9:                                ;   in Loop: Header=BB38_4 Depth=1
	s_load_dwordx2 s[10:11], s[36:37], 0xc
	s_waitcnt lgkmcnt(0)
	s_barrier
	s_lshr_b32 s40, s10, 16
	s_and_b32 s10, s10, 0xffff
	s_mul_i32 s80, s40, s10
	v_mul_u32_u24_e32 v0, s10, v7
	v_mul_lo_u32 v2, s80, v8
	v_add3_u32 v11, v0, v6, v2
	s_and_b32 s11, s11, 0xffff
	v_cmp_gt_u32_e32 vcc, s79, v11
	s_mul_i32 s80, s80, s11
	s_and_b64 s[54:55], s[42:43], vcc
	s_and_saveexec_b64 s[10:11], s[54:55]
	s_cbranch_execz .LBB38_12
; %bb.10:                               ;   in Loop: Header=BB38_4 Depth=1
	s_mov_b64 s[54:55], 0
	v_mov_b32_e32 v0, v11
.LBB38_11:                              ;   Parent Loop BB38_4 Depth=1
                                        ; =>  This Inner Loop Header: Depth=2
	v_lshlrev_b64 v[2:3], 2, v[0:1]
	v_mov_b32_e32 v4, s75
	v_add_co_u32_e32 v2, vcc, s74, v2
	v_addc_co_u32_e32 v3, vcc, v4, v3, vcc
	global_store_dword v[2:3], v0, off
	v_add_u32_e32 v0, s80, v0
	v_cmp_le_u32_e32 vcc, s79, v0
	s_or_b64 s[54:55], vcc, s[54:55]
	s_andn2_b64 exec, exec, s[54:55]
	s_cbranch_execnz .LBB38_11
.LBB38_12:                              ;   in Loop: Header=BB38_4 Depth=1
	s_or_b64 exec, exec, s[10:11]
	s_mul_i32 s10, s24, s19
	s_mul_hi_u32 s11, s24, s18
	s_add_i32 s10, s11, s10
	s_mul_i32 s11, s25, s18
	s_add_i32 s11, s10, s11
	s_mul_i32 s10, s24, s18
	s_lshl_b64 s[10:11], s[10:11], 3
	s_add_u32 s25, s16, s10
	s_addc_u32 s64, s17, s11
	s_barrier
	s_and_saveexec_b64 s[54:55], s[4:5]
	s_cbranch_execz .LBB38_28
; %bb.13:                               ;   in Loop: Header=BB38_4 Depth=1
	s_mov_b32 s40, 0
	s_branch .LBB38_15
.LBB38_14:                              ;   in Loop: Header=BB38_15 Depth=2
	s_add_i32 s40, s40, 1
	s_cmp_eq_u32 s40, 8
	s_cbranch_scc1 .LBB38_28
.LBB38_15:                              ;   Parent Loop BB38_4 Depth=1
                                        ; =>  This Loop Header: Depth=2
                                        ;       Child Loop BB38_18 Depth 3
                                        ;         Child Loop BB38_22 Depth 4
	s_lshl_b64 s[10:11], s[40:41], 2
	s_getpc_b64 s[56:57]
	s_add_u32 s56, s56, __const._ZN9rocsolver6v33100L20shell_sort_ascendingIdiEEvT0_PT_PS2_.gaps@rel32@lo+4
	s_addc_u32 s57, s57, __const._ZN9rocsolver6v33100L20shell_sort_ascendingIdiEEvT0_PT_PS2_.gaps@rel32@hi+12
	s_add_u32 s10, s10, s56
	s_addc_u32 s11, s11, s57
	s_load_dword s65, s[10:11], 0x0
	s_waitcnt lgkmcnt(0)
	s_cmp_ge_i32 s65, s79
	s_cbranch_scc1 .LBB38_14
; %bb.16:                               ;   in Loop: Header=BB38_15 Depth=2
	s_mov_b32 s66, 0
	s_mov_b32 s56, s65
	s_branch .LBB38_18
.LBB38_17:                              ;   in Loop: Header=BB38_18 Depth=3
	s_add_i32 s56, s56, 1
	s_add_i32 s66, s66, 1
	s_cmp_ge_i32 s56, s79
	s_cbranch_scc1 .LBB38_14
.LBB38_18:                              ;   Parent Loop BB38_4 Depth=1
                                        ;     Parent Loop BB38_15 Depth=2
                                        ; =>    This Loop Header: Depth=3
                                        ;         Child Loop BB38_22 Depth 4
	s_ashr_i32 s57, s56, 31
	s_lshl_b64 s[10:11], s[56:57], 3
	s_add_u32 s10, s25, s10
	s_addc_u32 s11, s64, s11
	global_load_dwordx2 v[2:3], v1, s[10:11]
	v_cmp_ne_u32_e64 s[10:11], 1, v10
	s_andn2_b64 vcc, exec, s[42:43]
	s_cbranch_vccnz .LBB38_20
; %bb.19:                               ;   in Loop: Header=BB38_18 Depth=3
	s_lshl_b64 s[58:59], s[56:57], 2
	s_add_u32 s58, s74, s58
	s_addc_u32 s59, s75, s59
	global_load_dword v0, v1, s[58:59]
	s_cmp_lt_i32 s56, s65
	s_mov_b64 s[58:59], s[56:57]
	s_mov_b32 s60, s66
	s_cbranch_scc0 .LBB38_22
	s_branch .LBB38_26
.LBB38_20:                              ;   in Loop: Header=BB38_18 Depth=3
	v_mov_b32_e32 v0, 0
	s_cmp_lt_i32 s56, s65
	s_mov_b64 s[58:59], s[56:57]
	s_mov_b32 s60, s66
	s_cbranch_scc0 .LBB38_22
	s_branch .LBB38_26
.LBB38_21:                              ;   in Loop: Header=BB38_22 Depth=4
                                        ; implicit-def: $sgpr60
	s_cbranch_execnz .LBB38_26
.LBB38_22:                              ;   Parent Loop BB38_4 Depth=1
                                        ;     Parent Loop BB38_15 Depth=2
                                        ;       Parent Loop BB38_18 Depth=3
                                        ; =>      This Inner Loop Header: Depth=4
	s_ashr_i32 s61, s60, 31
	s_add_i32 s58, s65, s60
	s_lshl_b64 s[62:63], s[60:61], 3
	s_add_u32 s62, s25, s62
	s_addc_u32 s63, s64, s63
	global_load_dwordx2 v[4:5], v1, s[62:63]
	s_ashr_i32 s59, s58, 31
	s_waitcnt vmcnt(0)
	v_cmp_ngt_f64_e32 vcc, v[4:5], v[2:3]
	s_cbranch_vccnz .LBB38_21
; %bb.23:                               ;   in Loop: Header=BB38_22 Depth=4
	s_lshl_b64 s[62:63], s[58:59], 3
	s_add_u32 s62, s25, s62
	s_addc_u32 s63, s64, s63
	s_and_b64 vcc, exec, s[10:11]
	global_store_dwordx2 v1, v[4:5], s[62:63]
	s_cbranch_vccnz .LBB38_25
; %bb.24:                               ;   in Loop: Header=BB38_22 Depth=4
	s_lshl_b64 s[58:59], s[58:59], 2
	s_add_u32 s58, s74, s58
	s_addc_u32 s59, s75, s59
	s_lshl_b64 s[62:63], s[60:61], 2
	s_add_u32 s62, s74, s62
	s_addc_u32 s63, s75, s63
	global_load_dword v4, v1, s[62:63]
	s_waitcnt vmcnt(0)
	global_store_dword v1, v4, s[58:59]
.LBB38_25:                              ;   in Loop: Header=BB38_22 Depth=4
	s_sub_i32 s57, s60, s65
	s_cmp_lt_i32 s60, s65
	s_cselect_b64 s[62:63], -1, 0
	s_mov_b64 s[58:59], s[60:61]
	s_mov_b32 s60, s57
	s_and_b64 vcc, exec, s[62:63]
	s_cbranch_vccz .LBB38_22
.LBB38_26:                              ;   in Loop: Header=BB38_18 Depth=3
	s_lshl_b64 s[60:61], s[58:59], 3
	s_add_u32 s60, s25, s60
	s_addc_u32 s61, s64, s61
	s_and_b64 vcc, exec, s[10:11]
	s_waitcnt vmcnt(0)
	global_store_dwordx2 v1, v[2:3], s[60:61]
	s_cbranch_vccnz .LBB38_17
; %bb.27:                               ;   in Loop: Header=BB38_18 Depth=3
	s_lshl_b64 s[10:11], s[58:59], 2
	s_add_u32 s10, s74, s10
	s_addc_u32 s11, s75, s11
	global_store_dword v1, v0, s[10:11]
	s_branch .LBB38_17
.LBB38_28:                              ;   in Loop: Header=BB38_4 Depth=1
	s_or_b64 exec, exec, s[54:55]
	s_cmp_lt_i32 s79, 2
	s_cselect_b64 s[60:61], -1, 0
	s_and_b64 vcc, exec, s[60:61]
	s_barrier
	s_cbranch_vccnz .LBB38_36
; %bb.29:                               ;   in Loop: Header=BB38_4 Depth=1
	s_add_i32 s40, s79, -1
	v_cmp_gt_u32_e32 vcc, s40, v11
	s_mov_b64 s[60:61], -1
                                        ; implicit-def: $sgpr10_sgpr11
                                        ; implicit-def: $sgpr56_sgpr57
	s_and_saveexec_b64 s[54:55], vcc
	s_cbranch_execz .LBB38_38
; %bb.30:                               ;   in Loop: Header=BB38_4 Depth=1
	s_add_u32 s81, s25, 8
	s_addc_u32 s82, s64, 0
	s_mov_b64 s[56:57], 0
	v_mov_b32_e32 v4, s64
	v_mov_b32_e32 v0, v11
                                        ; implicit-def: $sgpr62_sgpr63
                                        ; implicit-def: $sgpr60_sgpr61
                                        ; implicit-def: $sgpr58_sgpr59
	s_branch .LBB38_32
.LBB38_31:                              ;   in Loop: Header=BB38_32 Depth=2
	s_or_b64 exec, exec, s[72:73]
	s_xor_b64 s[68:69], s[70:71], -1
	s_and_b64 s[10:11], exec, s[10:11]
	s_or_b64 s[56:57], s[10:11], s[56:57]
	s_andn2_b64 s[10:11], s[58:59], exec
	s_and_b64 s[58:59], s[68:69], exec
	s_or_b64 s[58:59], s[10:11], s[58:59]
	s_andn2_b64 s[10:11], s[60:61], exec
	s_and_b64 s[60:61], s[66:67], exec
	;; [unrolled: 3-line block ×3, first 2 shown]
	s_or_b64 s[62:63], s[10:11], s[62:63]
	s_andn2_b64 exec, exec, s[56:57]
	s_cbranch_execz .LBB38_37
.LBB38_32:                              ;   Parent Loop BB38_4 Depth=1
                                        ; =>  This Inner Loop Header: Depth=2
	v_lshlrev_b64 v[2:3], 3, v[0:1]
	v_add_co_u32_e32 v2, vcc, s25, v2
	v_addc_co_u32_e32 v3, vcc, v4, v3, vcc
	global_load_dwordx2 v[2:3], v[2:3], off
                                        ; implicit-def: $sgpr66_sgpr67
                                        ; implicit-def: $sgpr64_sgpr65
	s_waitcnt vmcnt(0)
	v_cmp_u_f64_e64 s[68:69], v[2:3], v[2:3]
	v_cmp_o_f64_e32 vcc, v[2:3], v[2:3]
	s_and_saveexec_b64 s[70:71], vcc
	s_cbranch_execz .LBB38_34
; %bb.33:                               ;   in Loop: Header=BB38_32 Depth=2
	v_ashrrev_i32_e32 v13, 31, v0
	v_mov_b32_e32 v12, v0
	v_lshlrev_b64 v[12:13], 3, v[12:13]
	v_mov_b32_e32 v5, s82
	v_add_co_u32_e32 v12, vcc, s81, v12
	v_addc_co_u32_e32 v13, vcc, v5, v13, vcc
	global_load_dwordx2 v[12:13], v[12:13], off
	s_andn2_b64 s[68:69], s[68:69], exec
	s_mov_b64 s[64:65], 0
	s_mov_b64 s[66:67], -1
	s_waitcnt vmcnt(0)
	v_cmp_u_f64_e32 vcc, v[12:13], v[12:13]
	v_cmp_le_f64_e64 s[10:11], v[2:3], v[12:13]
	s_or_b64 s[10:11], vcc, s[10:11]
	s_and_b64 s[10:11], s[10:11], exec
	s_or_b64 s[68:69], s[68:69], s[10:11]
.LBB38_34:                              ;   in Loop: Header=BB38_32 Depth=2
	s_or_b64 exec, exec, s[70:71]
	s_mov_b64 s[10:11], -1
	s_mov_b64 s[70:71], s[66:67]
	s_and_saveexec_b64 s[72:73], s[68:69]
	s_cbranch_execz .LBB38_31
; %bb.35:                               ;   in Loop: Header=BB38_32 Depth=2
	v_add_u32_e32 v0, s80, v0
	v_cmp_le_u32_e32 vcc, s40, v0
	s_andn2_b64 s[70:71], s[66:67], exec
	s_orn2_b64 s[10:11], vcc, exec
	s_branch .LBB38_31
.LBB38_36:                              ;   in Loop: Header=BB38_4 Depth=1
                                        ; implicit-def: $sgpr10_sgpr11
                                        ; implicit-def: $sgpr56_sgpr57
	s_mov_b64 s[58:59], 0
	s_and_saveexec_b64 s[54:55], s[60:61]
	s_cbranch_execnz .LBB38_39
	s_branch .LBB38_40
.LBB38_37:                              ;   in Loop: Header=BB38_4 Depth=1
	s_or_b64 exec, exec, s[56:57]
	s_and_b64 s[56:57], s[62:63], exec
	s_and_b64 s[10:11], s[60:61], exec
	s_orn2_b64 s[60:61], s[58:59], exec
.LBB38_38:                              ;   in Loop: Header=BB38_4 Depth=1
	s_or_b64 exec, exec, s[54:55]
	s_mov_b64 s[58:59], 0
	s_and_saveexec_b64 s[54:55], s[60:61]
	s_cbranch_execz .LBB38_40
.LBB38_39:                              ;   in Loop: Header=BB38_4 Depth=1
	s_mov_b64 s[58:59], exec
	s_andn2_b64 s[56:57], s[56:57], exec
	s_andn2_b64 s[10:11], s[10:11], exec
	s_barrier
.LBB38_40:                              ;   in Loop: Header=BB38_4 Depth=1
	s_or_b64 exec, exec, s[54:55]
.LBB38_41:                              ;   in Loop: Header=BB38_4 Depth=1
	s_andn2_b64 s[50:51], s[50:51], exec
	s_and_b64 s[54:55], s[56:57], exec
	s_andn2_b64 s[48:49], s[48:49], exec
	s_and_b64 s[10:11], s[10:11], exec
	s_or_b64 s[50:51], s[50:51], s[54:55]
	s_or_b64 s[48:49], s[48:49], s[10:11]
	s_and_saveexec_b64 s[54:55], s[58:59]
	s_cbranch_execz .LBB38_3
; %bb.42:                               ;   in Loop: Header=BB38_4 Depth=1
	s_cmp_lg_u64 s[52:53], 0
	s_cselect_b64 s[10:11], -1, 0
	s_and_b64 s[10:11], s[34:35], s[10:11]
	s_and_b64 s[10:11], s[44:45], s[10:11]
	;; [unrolled: 1-line block ×3, first 2 shown]
	s_mov_b64 s[56:57], -1
	s_and_b64 vcc, exec, s[10:11]
	s_mov_b64 s[10:11], -1
	s_barrier
	s_waitcnt lgkmcnt(0)
                                        ; implicit-def: $sgpr58_sgpr59
                                        ; implicit-def: $sgpr12_sgpr13
	s_cbranch_vccz .LBB38_63
; %bb.43:                               ;   in Loop: Header=BB38_4 Depth=1
	s_load_dwordx2 s[10:11], s[36:37], 0xc
	s_waitcnt lgkmcnt(0)
	s_and_b32 s11, s11, 0xffff
	s_lshr_b32 s12, s10, 16
	s_and_b32 s10, s10, 0xffff
	s_mul_i32 s66, s12, s10
	s_cmp_lt_i32 s79, 0
	v_mul_u32_u24_e32 v0, s10, v7
	v_mul_lo_u32 v2, s66, v8
	s_cselect_b32 s25, s26, s79
	v_add3_u32 v2, v0, v6, v2
	s_cmp_eq_u32 s25, 0
	s_mul_i32 s66, s66, s11
	s_cbranch_scc1 .LBB38_54
; %bb.44:                               ;   in Loop: Header=BB38_4 Depth=1
	s_mov_b32 s40, 0
	v_cmp_eq_u32_e64 s[10:11], 0, v2
	v_cmp_gt_u32_e64 s[12:13], s26, v2
	s_branch .LBB38_46
.LBB38_45:                              ;   in Loop: Header=BB38_46 Depth=2
	s_add_i32 s40, s40, 1
	s_cmp_eq_u32 s40, s25
	s_cbranch_scc1 .LBB38_54
.LBB38_46:                              ;   Parent Loop BB38_4 Depth=1
                                        ; =>  This Loop Header: Depth=2
                                        ;       Child Loop BB38_48 Depth 3
                                        ;         Child Loop BB38_53 Depth 4
	s_lshl_b64 s[58:59], s[40:41], 2
	s_add_u32 s58, s74, s58
	s_addc_u32 s59, s75, s59
	s_barrier
	s_branch .LBB38_48
.LBB38_47:                              ;   in Loop: Header=BB38_48 Depth=3
	s_or_b64 exec, exec, s[60:61]
	s_waitcnt lgkmcnt(0)
	s_barrier
.LBB38_48:                              ;   Parent Loop BB38_4 Depth=1
                                        ;     Parent Loop BB38_46 Depth=2
                                        ; =>    This Loop Header: Depth=3
                                        ;         Child Loop BB38_53 Depth 4
	global_load_dword v0, v1, s[58:59]
	s_waitcnt vmcnt(0)
	v_cmp_eq_u32_e32 vcc, s40, v0
	v_readfirstlane_b32 s62, v0
	s_cbranch_vccnz .LBB38_45
; %bb.49:                               ;   in Loop: Header=BB38_48 Depth=3
	s_ashr_i32 s63, s62, 31
	s_lshl_b64 s[60:61], s[62:63], 2
	s_add_u32 s60, s74, s60
	s_addc_u32 s61, s75, s61
	global_load_dword v0, v1, s[60:61]
	s_barrier
	s_waitcnt vmcnt(0)
	v_readfirstlane_b32 s67, v0
	s_and_saveexec_b64 s[64:65], s[10:11]
	s_cbranch_execz .LBB38_51
; %bb.50:                               ;   in Loop: Header=BB38_48 Depth=3
	v_mov_b32_e32 v0, s62
	global_store_dword v1, v0, s[60:61]
	v_mov_b32_e32 v0, s67
	global_store_dword v1, v0, s[58:59]
.LBB38_51:                              ;   in Loop: Header=BB38_48 Depth=3
	s_or_b64 exec, exec, s[64:65]
	s_barrier
	s_and_saveexec_b64 s[60:61], s[12:13]
	s_cbranch_execz .LBB38_47
; %bb.52:                               ;   in Loop: Header=BB38_48 Depth=3
	s_mul_i32 s63, s63, s78
	s_mul_hi_u32 s64, s62, s78
	s_add_i32 s63, s64, s63
	s_ashr_i32 s64, s67, 31
	s_mul_i32 s62, s62, s78
	s_mul_hi_u32 s65, s67, s78
	s_mul_i32 s64, s64, s78
	s_add_i32 s69, s65, s64
	s_lshl_b64 s[62:63], s[62:63], 4
	s_mul_i32 s68, s67, s78
	s_add_u32 s64, s52, s62
	s_addc_u32 s67, s53, s63
	s_lshl_b64 s[62:63], s[68:69], 4
	s_add_u32 s65, s52, s62
	s_addc_u32 s68, s53, s63
	s_mov_b64 s[62:63], 0
	v_mov_b32_e32 v3, s67
	v_mov_b32_e32 v4, s68
	;; [unrolled: 1-line block ×3, first 2 shown]
.LBB38_53:                              ;   Parent Loop BB38_4 Depth=1
                                        ;     Parent Loop BB38_46 Depth=2
                                        ;       Parent Loop BB38_48 Depth=3
                                        ; =>      This Inner Loop Header: Depth=4
	v_lshlrev_b64 v[16:17], 4, v[0:1]
	v_add_co_u32_e32 v18, vcc, s64, v16
	v_addc_co_u32_e32 v19, vcc, v3, v17, vcc
	flat_load_dwordx4 v[12:15], v[18:19]
	v_add_co_u32_e32 v16, vcc, s65, v16
	v_addc_co_u32_e32 v17, vcc, v4, v17, vcc
	v_add_u32_e32 v0, s66, v0
	v_cmp_le_u32_e32 vcc, s26, v0
	s_or_b64 s[62:63], vcc, s[62:63]
	s_waitcnt vmcnt(0) lgkmcnt(0)
	ds_write2_b64 v9, v[12:13], v[14:15] offset1:1
	flat_load_dwordx4 v[12:15], v[16:17]
	s_waitcnt vmcnt(0) lgkmcnt(0)
	flat_store_dwordx4 v[18:19], v[12:15]
	ds_read2_b64 v[12:15], v9 offset1:1
	s_waitcnt lgkmcnt(0)
	flat_store_dwordx4 v[16:17], v[12:15]
	s_andn2_b64 exec, exec, s[62:63]
	s_cbranch_execnz .LBB38_53
	s_branch .LBB38_47
.LBB38_54:                              ;   in Loop: Header=BB38_4 Depth=1
	v_cmp_gt_u32_e32 vcc, s25, v2
	s_mov_b64 s[52:53], -1
	s_barrier
	s_waitcnt lgkmcnt(0)
                                        ; implicit-def: $sgpr58_sgpr59
                                        ; implicit-def: $sgpr12_sgpr13
	s_and_saveexec_b64 s[10:11], vcc
	s_cbranch_execz .LBB38_60
; %bb.55:                               ;   in Loop: Header=BB38_4 Depth=1
	s_mov_b64 s[12:13], 0
	v_mov_b32_e32 v0, v2
                                        ; implicit-def: $sgpr52_sgpr53
                                        ; implicit-def: $sgpr60_sgpr61
                                        ; implicit-def: $sgpr58_sgpr59
	s_branch .LBB38_57
.LBB38_56:                              ;   in Loop: Header=BB38_57 Depth=2
	s_or_b64 exec, exec, s[62:63]
	s_xor_b64 s[62:63], s[58:59], -1
	s_and_b64 s[64:65], exec, s[60:61]
	s_or_b64 s[12:13], s[64:65], s[12:13]
	s_andn2_b64 s[52:53], s[52:53], exec
	s_and_b64 s[62:63], s[62:63], exec
	s_or_b64 s[52:53], s[52:53], s[62:63]
	s_andn2_b64 exec, exec, s[12:13]
	s_cbranch_execz .LBB38_59
.LBB38_57:                              ;   Parent Loop BB38_4 Depth=1
                                        ; =>  This Inner Loop Header: Depth=2
	v_lshlrev_b64 v[2:3], 2, v[0:1]
	v_mov_b32_e32 v4, s75
	v_add_co_u32_e32 v2, vcc, s74, v2
	v_addc_co_u32_e32 v3, vcc, v4, v3, vcc
	global_load_dword v2, v[2:3], off
	s_or_b64 s[58:59], s[58:59], exec
	s_or_b64 s[60:61], s[60:61], exec
	s_waitcnt vmcnt(0)
	v_cmp_eq_u32_e32 vcc, v0, v2
	s_and_saveexec_b64 s[62:63], vcc
	s_cbranch_execz .LBB38_56
; %bb.58:                               ;   in Loop: Header=BB38_57 Depth=2
	v_add_u32_e32 v0, s66, v0
	v_cmp_le_u32_e32 vcc, s25, v0
	s_andn2_b64 s[60:61], s[60:61], exec
	s_and_b64 s[64:65], vcc, exec
	s_andn2_b64 s[58:59], s[58:59], exec
	s_or_b64 s[60:61], s[60:61], s[64:65]
	s_branch .LBB38_56
.LBB38_59:                              ;   in Loop: Header=BB38_4 Depth=1
	s_or_b64 exec, exec, s[12:13]
	s_mov_b64 s[12:13], 0
	s_mov_b64 s[58:59], -1
	s_orn2_b64 s[52:53], s[52:53], exec
.LBB38_60:                              ;   in Loop: Header=BB38_4 Depth=1
	s_or_b64 exec, exec, s[10:11]
	s_mov_b64 s[10:11], 0
	s_and_saveexec_b64 s[60:61], s[52:53]
	s_cbranch_execz .LBB38_62
; %bb.61:                               ;   in Loop: Header=BB38_4 Depth=1
	s_mov_b64 s[10:11], exec
	s_barrier
	s_waitcnt lgkmcnt(0)
                                        ; implicit-def: $sgpr58_sgpr59
                                        ; implicit-def: $sgpr12_sgpr13
.LBB38_62:                              ;   in Loop: Header=BB38_4 Depth=1
	s_or_b64 exec, exec, s[60:61]
.LBB38_63:                              ;   in Loop: Header=BB38_4 Depth=1
	s_and_saveexec_b64 s[52:53], s[10:11]
	s_cbranch_execz .LBB38_2
; %bb.64:                               ;   in Loop: Header=BB38_4 Depth=1
	s_add_i32 s24, s24, s27
	s_cmp_ge_i32 s24, s33
	s_cselect_b64 s[10:11], -1, 0
	s_andn2_b64 s[58:59], s[58:59], exec
	s_andn2_b64 s[12:13], s[12:13], exec
	s_orn2_b64 s[56:57], s[10:11], exec
	s_barrier
	s_branch .LBB38_2
.LBB38_65:
	s_or_b64 exec, exec, s[30:31]
	s_xor_b64 s[4:5], s[46:47], -1
	s_mov_b64 s[26:27], 0
	s_and_saveexec_b64 s[8:9], s[4:5]
	s_xor_b64 s[28:29], exec, s[8:9]
	s_cbranch_execnz .LBB38_70
; %bb.66:
	s_andn2_saveexec_b64 s[28:29], s[28:29]
	s_cbranch_execnz .LBB38_73
.LBB38_67:
	s_or_b64 exec, exec, s[28:29]
	s_and_saveexec_b64 s[4:5], s[26:27]
.LBB38_68:
	; divergent unreachable
.LBB38_69:
	s_endpgm
.LBB38_70:
	s_mov_b64 s[4:5], 0
	s_and_saveexec_b64 s[8:9], s[22:23]
	s_xor_b64 s[26:27], exec, s[8:9]
	s_cbranch_execz .LBB38_72
; %bb.71:
	s_add_u32 s8, s6, 0x48
	s_addc_u32 s9, s7, 0
	s_getpc_b64 s[4:5]
	s_add_u32 s4, s4, .str.6@rel32@lo+4
	s_addc_u32 s5, s5, .str.6@rel32@hi+12
	s_getpc_b64 s[10:11]
	s_add_u32 s10, s10, __PRETTY_FUNCTION__._ZN9rocsolver6v33100L12permute_swapI19rocblas_complex_numIdEiEEvT0_PT_S4_PS4_S4_@rel32@lo+4
	s_addc_u32 s11, s11, __PRETTY_FUNCTION__._ZN9rocsolver6v33100L12permute_swapI19rocblas_complex_numIdEiEEvT0_PT_S4_PS4_S4_@rel32@hi+12
	v_mov_b32_e32 v0, s4
	v_mov_b32_e32 v1, s5
	;; [unrolled: 1-line block ×5, first 2 shown]
	s_getpc_b64 s[12:13]
	s_add_u32 s12, s12, __assert_fail@rel32@lo+4
	s_addc_u32 s13, s13, __assert_fail@rel32@hi+12
	s_mov_b64 s[34:35], s[6:7]
	s_swappc_b64 s[30:31], s[12:13]
	s_mov_b64 s[6:7], s[34:35]
	s_mov_b64 s[4:5], exec
.LBB38_72:
	s_or_b64 exec, exec, s[26:27]
	s_and_b64 s[26:27], s[4:5], exec
	s_andn2_saveexec_b64 s[28:29], s[28:29]
	s_cbranch_execz .LBB38_67
.LBB38_73:
	s_add_u32 s8, s6, 0x48
	s_addc_u32 s9, s7, 0
	s_getpc_b64 s[4:5]
	s_add_u32 s4, s4, .str.3@rel32@lo+4
	s_addc_u32 s5, s5, .str.3@rel32@hi+12
	s_getpc_b64 s[6:7]
	s_add_u32 s6, s6, __PRETTY_FUNCTION__._ZN9rocsolver6v33100L20shell_sort_ascendingIdiEEvT0_PT_PS2_@rel32@lo+4
	s_addc_u32 s7, s7, __PRETTY_FUNCTION__._ZN9rocsolver6v33100L20shell_sort_ascendingIdiEEvT0_PT_PS2_@rel32@hi+12
	v_mov_b32_e32 v0, s4
	v_mov_b32_e32 v1, s5
	;; [unrolled: 1-line block ×5, first 2 shown]
	s_getpc_b64 s[10:11]
	s_add_u32 s10, s10, __assert_fail@rel32@lo+4
	s_addc_u32 s11, s11, __assert_fail@rel32@hi+12
	s_swappc_b64 s[30:31], s[10:11]
	s_or_b64 s[26:27], s[26:27], exec
	s_or_b64 exec, exec, s[28:29]
	s_and_saveexec_b64 s[4:5], s[26:27]
	s_cbranch_execnz .LBB38_68
	s_branch .LBB38_69
	.section	.rodata,"a",@progbits
	.p2align	6, 0x0
	.amdhsa_kernel _ZN9rocsolver6v33100L11stedcx_sortI19rocblas_complex_numIdEdPS3_EEviPT0_lT1_iiliPiS8_
		.amdhsa_group_segment_fixed_size 4096
		.amdhsa_private_segment_fixed_size 64
		.amdhsa_kernarg_size 328
		.amdhsa_user_sgpr_count 10
		.amdhsa_user_sgpr_private_segment_buffer 1
		.amdhsa_user_sgpr_dispatch_ptr 1
		.amdhsa_user_sgpr_queue_ptr 0
		.amdhsa_user_sgpr_kernarg_segment_ptr 1
		.amdhsa_user_sgpr_dispatch_id 0
		.amdhsa_user_sgpr_flat_scratch_init 1
		.amdhsa_user_sgpr_kernarg_preload_length 0
		.amdhsa_user_sgpr_kernarg_preload_offset 0
		.amdhsa_user_sgpr_private_segment_size 0
		.amdhsa_uses_dynamic_stack 0
		.amdhsa_system_sgpr_private_segment_wavefront_offset 1
		.amdhsa_system_sgpr_workgroup_id_x 1
		.amdhsa_system_sgpr_workgroup_id_y 0
		.amdhsa_system_sgpr_workgroup_id_z 1
		.amdhsa_system_sgpr_workgroup_info 0
		.amdhsa_system_vgpr_workitem_id 2
		.amdhsa_next_free_vgpr 51
		.amdhsa_next_free_sgpr 83
		.amdhsa_accum_offset 52
		.amdhsa_reserve_vcc 1
		.amdhsa_reserve_flat_scratch 1
		.amdhsa_float_round_mode_32 0
		.amdhsa_float_round_mode_16_64 0
		.amdhsa_float_denorm_mode_32 3
		.amdhsa_float_denorm_mode_16_64 3
		.amdhsa_dx10_clamp 1
		.amdhsa_ieee_mode 1
		.amdhsa_fp16_overflow 0
		.amdhsa_tg_split 0
		.amdhsa_exception_fp_ieee_invalid_op 0
		.amdhsa_exception_fp_denorm_src 0
		.amdhsa_exception_fp_ieee_div_zero 0
		.amdhsa_exception_fp_ieee_overflow 0
		.amdhsa_exception_fp_ieee_underflow 0
		.amdhsa_exception_fp_ieee_inexact 0
		.amdhsa_exception_int_div_zero 0
	.end_amdhsa_kernel
	.section	.text._ZN9rocsolver6v33100L11stedcx_sortI19rocblas_complex_numIdEdPS3_EEviPT0_lT1_iiliPiS8_,"axG",@progbits,_ZN9rocsolver6v33100L11stedcx_sortI19rocblas_complex_numIdEdPS3_EEviPT0_lT1_iiliPiS8_,comdat
.Lfunc_end38:
	.size	_ZN9rocsolver6v33100L11stedcx_sortI19rocblas_complex_numIdEdPS3_EEviPT0_lT1_iiliPiS8_, .Lfunc_end38-_ZN9rocsolver6v33100L11stedcx_sortI19rocblas_complex_numIdEdPS3_EEviPT0_lT1_iiliPiS8_
                                        ; -- End function
	.section	.AMDGPU.csdata,"",@progbits
; Kernel info:
; codeLenInByte = 2540
; NumSgprs: 89
; NumVgprs: 51
; NumAgprs: 0
; TotalNumVgprs: 51
; ScratchSize: 64
; MemoryBound: 0
; FloatMode: 240
; IeeeMode: 1
; LDSByteSize: 4096 bytes/workgroup (compile time only)
; SGPRBlocks: 11
; VGPRBlocks: 6
; NumSGPRsForWavesPerEU: 89
; NumVGPRsForWavesPerEU: 51
; AccumOffset: 52
; Occupancy: 8
; WaveLimiterHint : 1
; COMPUTE_PGM_RSRC2:SCRATCH_EN: 1
; COMPUTE_PGM_RSRC2:USER_SGPR: 10
; COMPUTE_PGM_RSRC2:TRAP_HANDLER: 0
; COMPUTE_PGM_RSRC2:TGID_X_EN: 1
; COMPUTE_PGM_RSRC2:TGID_Y_EN: 0
; COMPUTE_PGM_RSRC2:TGID_Z_EN: 1
; COMPUTE_PGM_RSRC2:TIDIG_COMP_CNT: 2
; COMPUTE_PGM_RSRC3_GFX90A:ACCUM_OFFSET: 12
; COMPUTE_PGM_RSRC3_GFX90A:TG_SPLIT: 0
	.text
	.p2alignl 6, 3212836864
	.fill 256, 4, 3212836864
	.type	__const.__assert_fail.fmt,@object ; @__const.__assert_fail.fmt
	.section	.rodata.str1.16,"aMS",@progbits,1
	.p2align	4, 0x0
__const.__assert_fail.fmt:
	.asciz	"%s:%u: %s: Device-side assertion `%s' failed.\n"
	.size	__const.__assert_fail.fmt, 47

	.type	__const._ZN9rocsolver6v33100L20shell_sort_ascendingIfiEEvT0_PT_PS2_.gaps,@object ; @__const._ZN9rocsolver6v33100L20shell_sort_ascendingIfiEEvT0_PT_PS2_.gaps
	.section	.rodata.cst32,"aM",@progbits,32
	.p2align	4, 0x0
__const._ZN9rocsolver6v33100L20shell_sort_ascendingIfiEEvT0_PT_PS2_.gaps:
	.long	701                             ; 0x2bd
	.long	301                             ; 0x12d
	;; [unrolled: 1-line block ×3, first 2 shown]
	.long	57                              ; 0x39
	.long	23                              ; 0x17
	;; [unrolled: 1-line block ×3, first 2 shown]
	.long	4                               ; 0x4
	.long	1                               ; 0x1
	.size	__const._ZN9rocsolver6v33100L20shell_sort_ascendingIfiEEvT0_PT_PS2_.gaps, 32

	.type	.str.3,@object                  ; @.str.3
	.section	.rodata.str1.1,"aMS",@progbits,1
.str.3:
	.asciz	"std::isnan(a[k]) || std::isnan(a[k + 1]) || a[k] <= a[k + 1]"
	.size	.str.3, 61

	.type	.str.4,@object                  ; @.str.4
.str.4:
	.asciz	"/root/src/amdgpu-assembly/repos/ROCm__rocSOLVER/library/src/include/lib_device_helpers.hpp"
	.size	.str.4, 91

	.type	__PRETTY_FUNCTION__._ZN9rocsolver6v33100L20shell_sort_ascendingIfiEEvT0_PT_PS2_,@object ; @__PRETTY_FUNCTION__._ZN9rocsolver6v33100L20shell_sort_ascendingIfiEEvT0_PT_PS2_
__PRETTY_FUNCTION__._ZN9rocsolver6v33100L20shell_sort_ascendingIfiEEvT0_PT_PS2_:
	.asciz	"void rocsolver::shell_sort_ascending(const I, S *, I *) [S = float, I = int]"
	.size	__PRETTY_FUNCTION__._ZN9rocsolver6v33100L20shell_sort_ascendingIfiEEvT0_PT_PS2_, 77

	.type	.str.6,@object                  ; @.str.6
.str.6:
	.asciz	"std::isnan(map[k]) || map[k] == k"
	.size	.str.6, 34

	.type	__PRETTY_FUNCTION__._ZN9rocsolver6v33100L12permute_swapIfiEEvT0_PT_S2_PS2_S2_,@object ; @__PRETTY_FUNCTION__._ZN9rocsolver6v33100L12permute_swapIfiEEvT0_PT_S2_PS2_S2_
__PRETTY_FUNCTION__._ZN9rocsolver6v33100L12permute_swapIfiEEvT0_PT_S2_PS2_S2_:
	.asciz	"void rocsolver::permute_swap(const I, T *, I, I *, const I) [T = float, I = int]"
	.size	__PRETTY_FUNCTION__._ZN9rocsolver6v33100L12permute_swapIfiEEvT0_PT_S2_PS2_S2_, 81

	.type	__const._ZN9rocsolver6v33100L20shell_sort_ascendingIdiEEvT0_PT_PS2_.gaps,@object ; @__const._ZN9rocsolver6v33100L20shell_sort_ascendingIdiEEvT0_PT_PS2_.gaps
	.section	.rodata.cst32,"aM",@progbits,32
	.p2align	4, 0x0
__const._ZN9rocsolver6v33100L20shell_sort_ascendingIdiEEvT0_PT_PS2_.gaps:
	.long	701                             ; 0x2bd
	.long	301                             ; 0x12d
	;; [unrolled: 1-line block ×3, first 2 shown]
	.long	57                              ; 0x39
	.long	23                              ; 0x17
	.long	10                              ; 0xa
	.long	4                               ; 0x4
	.long	1                               ; 0x1
	.size	__const._ZN9rocsolver6v33100L20shell_sort_ascendingIdiEEvT0_PT_PS2_.gaps, 32

	.type	__PRETTY_FUNCTION__._ZN9rocsolver6v33100L20shell_sort_ascendingIdiEEvT0_PT_PS2_,@object ; @__PRETTY_FUNCTION__._ZN9rocsolver6v33100L20shell_sort_ascendingIdiEEvT0_PT_PS2_
	.section	.rodata.str1.1,"aMS",@progbits,1
__PRETTY_FUNCTION__._ZN9rocsolver6v33100L20shell_sort_ascendingIdiEEvT0_PT_PS2_:
	.asciz	"void rocsolver::shell_sort_ascending(const I, S *, I *) [S = double, I = int]"
	.size	__PRETTY_FUNCTION__._ZN9rocsolver6v33100L20shell_sort_ascendingIdiEEvT0_PT_PS2_, 78

	.type	__PRETTY_FUNCTION__._ZN9rocsolver6v33100L12permute_swapIdiEEvT0_PT_S2_PS2_S2_,@object ; @__PRETTY_FUNCTION__._ZN9rocsolver6v33100L12permute_swapIdiEEvT0_PT_S2_PS2_S2_
__PRETTY_FUNCTION__._ZN9rocsolver6v33100L12permute_swapIdiEEvT0_PT_S2_PS2_S2_:
	.asciz	"void rocsolver::permute_swap(const I, T *, I, I *, const I) [T = double, I = int]"
	.size	__PRETTY_FUNCTION__._ZN9rocsolver6v33100L12permute_swapIdiEEvT0_PT_S2_PS2_S2_, 82

	.type	__PRETTY_FUNCTION__._ZN9rocsolver6v33100L12permute_swapI19rocblas_complex_numIfEiEEvT0_PT_S4_PS4_S4_,@object ; @__PRETTY_FUNCTION__._ZN9rocsolver6v33100L12permute_swapI19rocblas_complex_numIfEiEEvT0_PT_S4_PS4_S4_
__PRETTY_FUNCTION__._ZN9rocsolver6v33100L12permute_swapI19rocblas_complex_numIfEiEEvT0_PT_S4_PS4_S4_:
	.asciz	"void rocsolver::permute_swap(const I, T *, I, I *, const I) [T = rocblas_complex_num<float>, I = int]"
	.size	__PRETTY_FUNCTION__._ZN9rocsolver6v33100L12permute_swapI19rocblas_complex_numIfEiEEvT0_PT_S4_PS4_S4_, 102

	.type	__PRETTY_FUNCTION__._ZN9rocsolver6v33100L12permute_swapI19rocblas_complex_numIdEiEEvT0_PT_S4_PS4_S4_,@object ; @__PRETTY_FUNCTION__._ZN9rocsolver6v33100L12permute_swapI19rocblas_complex_numIdEiEEvT0_PT_S4_PS4_S4_
__PRETTY_FUNCTION__._ZN9rocsolver6v33100L12permute_swapI19rocblas_complex_numIdEiEEvT0_PT_S4_PS4_S4_:
	.asciz	"void rocsolver::permute_swap(const I, T *, I, I *, const I) [T = rocblas_complex_num<double>, I = int]"
	.size	__PRETTY_FUNCTION__._ZN9rocsolver6v33100L12permute_swapI19rocblas_complex_numIdEiEEvT0_PT_S4_PS4_S4_, 103

	.type	__hip_cuid_4351fbcacfae7b0e,@object ; @__hip_cuid_4351fbcacfae7b0e
	.section	.bss,"aw",@nobits
	.globl	__hip_cuid_4351fbcacfae7b0e
__hip_cuid_4351fbcacfae7b0e:
	.byte	0                               ; 0x0
	.size	__hip_cuid_4351fbcacfae7b0e, 1

	.ident	"AMD clang version 19.0.0git (https://github.com/RadeonOpenCompute/llvm-project roc-6.4.0 25133 c7fe45cf4b819c5991fe208aaa96edf142730f1d)"
	.section	".note.GNU-stack","",@progbits
	.addrsig
	.addrsig_sym __hip_cuid_4351fbcacfae7b0e
	.amdgpu_metadata
---
amdhsa.kernels:
  - .agpr_count:     0
    .args:
      - .address_space:  global
        .offset:         0
        .size:           8
        .value_kind:     global_buffer
      - .offset:         8
        .size:           4
        .value_kind:     by_value
      - .offset:         12
        .size:           4
        .value_kind:     by_value
      - .offset:         16
        .size:           4
        .value_kind:     by_value
      - .offset:         24
        .size:           4
        .value_kind:     hidden_block_count_x
      - .offset:         28
        .size:           4
        .value_kind:     hidden_block_count_y
      - .offset:         32
        .size:           4
        .value_kind:     hidden_block_count_z
      - .offset:         36
        .size:           2
        .value_kind:     hidden_group_size_x
      - .offset:         38
        .size:           2
        .value_kind:     hidden_group_size_y
      - .offset:         40
        .size:           2
        .value_kind:     hidden_group_size_z
      - .offset:         42
        .size:           2
        .value_kind:     hidden_remainder_x
      - .offset:         44
        .size:           2
        .value_kind:     hidden_remainder_y
      - .offset:         46
        .size:           2
        .value_kind:     hidden_remainder_z
      - .offset:         64
        .size:           8
        .value_kind:     hidden_global_offset_x
      - .offset:         72
        .size:           8
        .value_kind:     hidden_global_offset_y
      - .offset:         80
        .size:           8
        .value_kind:     hidden_global_offset_z
      - .offset:         88
        .size:           2
        .value_kind:     hidden_grid_dims
    .group_segment_fixed_size: 0
    .kernarg_segment_align: 8
    .kernarg_segment_size: 280
    .language:       OpenCL C
    .language_version:
      - 2
      - 0
    .max_flat_workgroup_size: 1024
    .name:           _ZN9rocsolver6v33100L10reset_infoIiiiEEvPT_T0_T1_S4_
    .private_segment_fixed_size: 0
    .sgpr_count:     12
    .sgpr_spill_count: 0
    .symbol:         _ZN9rocsolver6v33100L10reset_infoIiiiEEvPT_T0_T1_S4_.kd
    .uniform_work_group_size: 1
    .uses_dynamic_stack: false
    .vgpr_count:     4
    .vgpr_spill_count: 0
    .wavefront_size: 64
  - .agpr_count:     0
    .args:
      - .address_space:  global
        .offset:         0
        .size:           8
        .value_kind:     global_buffer
      - .offset:         8
        .size:           8
        .value_kind:     by_value
      - .offset:         16
        .size:           4
        .value_kind:     by_value
      - .offset:         20
        .size:           4
        .value_kind:     by_value
      - .offset:         24
        .size:           4
        .value_kind:     hidden_block_count_x
      - .offset:         28
        .size:           4
        .value_kind:     hidden_block_count_y
      - .offset:         32
        .size:           4
        .value_kind:     hidden_block_count_z
      - .offset:         36
        .size:           2
        .value_kind:     hidden_group_size_x
      - .offset:         38
        .size:           2
        .value_kind:     hidden_group_size_y
      - .offset:         40
        .size:           2
        .value_kind:     hidden_group_size_z
      - .offset:         42
        .size:           2
        .value_kind:     hidden_remainder_x
      - .offset:         44
        .size:           2
        .value_kind:     hidden_remainder_y
      - .offset:         46
        .size:           2
        .value_kind:     hidden_remainder_z
      - .offset:         64
        .size:           8
        .value_kind:     hidden_global_offset_x
      - .offset:         72
        .size:           8
        .value_kind:     hidden_global_offset_y
      - .offset:         80
        .size:           8
        .value_kind:     hidden_global_offset_z
      - .offset:         88
        .size:           2
        .value_kind:     hidden_grid_dims
    .group_segment_fixed_size: 0
    .kernarg_segment_align: 8
    .kernarg_segment_size: 280
    .language:       OpenCL C
    .language_version:
      - 2
      - 0
    .max_flat_workgroup_size: 1024
    .name:           _ZN9rocsolver6v33100L16reset_batch_infoIfiiPfEEvT2_lT0_T1_
    .private_segment_fixed_size: 0
    .sgpr_count:     16
    .sgpr_spill_count: 0
    .symbol:         _ZN9rocsolver6v33100L16reset_batch_infoIfiiPfEEvT2_lT0_T1_.kd
    .uniform_work_group_size: 1
    .uses_dynamic_stack: false
    .vgpr_count:     4
    .vgpr_spill_count: 0
    .wavefront_size: 64
  - .agpr_count:     0
    .args:
      - .offset:         0
        .size:           4
        .value_kind:     by_value
      - .offset:         4
        .size:           4
        .value_kind:     by_value
      - .offset:         8
        .size:           4
        .value_kind:     by_value
      - .address_space:  global
        .offset:         16
        .size:           8
        .value_kind:     global_buffer
      - .offset:         24
        .size:           8
        .value_kind:     by_value
      - .address_space:  global
        .offset:         32
        .size:           8
        .value_kind:     global_buffer
      - .address_space:  global
        .offset:         40
        .size:           8
        .value_kind:     global_buffer
      - .offset:         48
        .size:           8
        .value_kind:     by_value
    .group_segment_fixed_size: 0
    .kernarg_segment_align: 8
    .kernarg_segment_size: 56
    .language:       OpenCL C
    .language_version:
      - 2
      - 0
    .max_flat_workgroup_size: 1024
    .name:           _ZN9rocsolver6v33100L19stedcx_case1_kernelIfEEv15rocblas_erange_T_S3_PS3_lPiS4_l
    .private_segment_fixed_size: 0
    .sgpr_count:     20
    .sgpr_spill_count: 0
    .symbol:         _ZN9rocsolver6v33100L19stedcx_case1_kernelIfEEv15rocblas_erange_T_S3_PS3_lPiS4_l.kd
    .uniform_work_group_size: 1
    .uses_dynamic_stack: false
    .vgpr_count:     2
    .vgpr_spill_count: 0
    .wavefront_size: 64
  - .agpr_count:     0
    .args:
      - .offset:         0
        .size:           4
        .value_kind:     by_value
      - .offset:         4
        .size:           4
        .value_kind:     by_value
      - .address_space:  global
        .offset:         8
        .size:           8
        .value_kind:     global_buffer
      - .offset:         16
        .size:           4
        .value_kind:     by_value
      - .offset:         20
        .size:           4
        .value_kind:     by_value
      - .offset:         24
        .size:           8
        .value_kind:     by_value
      - .offset:         32
        .size:           4
        .value_kind:     hidden_block_count_x
      - .offset:         36
        .size:           4
        .value_kind:     hidden_block_count_y
      - .offset:         40
        .size:           4
        .value_kind:     hidden_block_count_z
      - .offset:         44
        .size:           2
        .value_kind:     hidden_group_size_x
      - .offset:         46
        .size:           2
        .value_kind:     hidden_group_size_y
      - .offset:         48
        .size:           2
        .value_kind:     hidden_group_size_z
      - .offset:         50
        .size:           2
        .value_kind:     hidden_remainder_x
      - .offset:         52
        .size:           2
        .value_kind:     hidden_remainder_y
      - .offset:         54
        .size:           2
        .value_kind:     hidden_remainder_z
      - .offset:         72
        .size:           8
        .value_kind:     hidden_global_offset_x
      - .offset:         80
        .size:           8
        .value_kind:     hidden_global_offset_y
      - .offset:         88
        .size:           8
        .value_kind:     hidden_global_offset_z
      - .offset:         96
        .size:           2
        .value_kind:     hidden_grid_dims
    .group_segment_fixed_size: 0
    .kernarg_segment_align: 8
    .kernarg_segment_size: 288
    .language:       OpenCL C
    .language_version:
      - 2
      - 0
    .max_flat_workgroup_size: 1024
    .name:           _ZN9rocsolver6v33100L10init_identIfPfEEviiT0_iil
    .private_segment_fixed_size: 0
    .sgpr_count:     13
    .sgpr_spill_count: 0
    .symbol:         _ZN9rocsolver6v33100L10init_identIfPfEEviiT0_iil.kd
    .uniform_work_group_size: 1
    .uses_dynamic_stack: false
    .vgpr_count:     4
    .vgpr_spill_count: 0
    .wavefront_size: 64
  - .agpr_count:     0
    .args:
      - .offset:         0
        .size:           4
        .value_kind:     by_value
      - .offset:         4
        .size:           4
        .value_kind:     by_value
      - .offset:         8
        .size:           4
        .value_kind:     by_value
      - .offset:         12
        .size:           4
        .value_kind:     by_value
      - .offset:         16
        .size:           4
        .value_kind:     by_value
      - .offset:         20
        .size:           4
        .value_kind:     by_value
      - .address_space:  global
        .offset:         24
        .size:           8
        .value_kind:     global_buffer
      - .offset:         32
        .size:           8
        .value_kind:     by_value
      - .address_space:  global
        .offset:         40
        .size:           8
        .value_kind:     global_buffer
      - .offset:         48
        .size:           8
        .value_kind:     by_value
      - .address_space:  global
        .offset:         56
        .size:           8
        .value_kind:     global_buffer
      - .offset:         64
        .size:           8
        .value_kind:     by_value
      - .address_space:  global
        .offset:         72
        .size:           8
        .value_kind:     global_buffer
      - .address_space:  global
        .offset:         80
        .size:           8
        .value_kind:     global_buffer
      - .offset:         88
        .size:           4
        .value_kind:     by_value
      - .offset:         92
        .size:           4
        .value_kind:     by_value
      - .offset:         96
        .size:           4
        .value_kind:     hidden_block_count_x
      - .offset:         100
        .size:           4
        .value_kind:     hidden_block_count_y
      - .offset:         104
        .size:           4
        .value_kind:     hidden_block_count_z
      - .offset:         108
        .size:           2
        .value_kind:     hidden_group_size_x
      - .offset:         110
        .size:           2
        .value_kind:     hidden_group_size_y
      - .offset:         112
        .size:           2
        .value_kind:     hidden_group_size_z
      - .offset:         114
        .size:           2
        .value_kind:     hidden_remainder_x
      - .offset:         116
        .size:           2
        .value_kind:     hidden_remainder_y
      - .offset:         118
        .size:           2
        .value_kind:     hidden_remainder_z
      - .offset:         136
        .size:           8
        .value_kind:     hidden_global_offset_x
      - .offset:         144
        .size:           8
        .value_kind:     hidden_global_offset_y
      - .offset:         152
        .size:           8
        .value_kind:     hidden_global_offset_z
      - .offset:         160
        .size:           2
        .value_kind:     hidden_grid_dims
    .group_segment_fixed_size: 2048
    .kernarg_segment_align: 8
    .kernarg_segment_size: 352
    .language:       OpenCL C
    .language_version:
      - 2
      - 0
    .max_flat_workgroup_size: 256
    .name:           _ZN9rocsolver6v33100L19stedcx_split_kernelIfEEv15rocblas_erange_iT_S3_iiPS3_lS4_lS4_lPiS4_S3_S3_
    .private_segment_fixed_size: 0
    .sgpr_count:     68
    .sgpr_spill_count: 0
    .symbol:         _ZN9rocsolver6v33100L19stedcx_split_kernelIfEEv15rocblas_erange_iT_S3_iiPS3_lS4_lS4_lPiS4_S3_S3_.kd
    .uniform_work_group_size: 1
    .uses_dynamic_stack: false
    .vgpr_count:     46
    .vgpr_spill_count: 0
    .wavefront_size: 64
  - .agpr_count:     0
    .args:
      - .offset:         0
        .size:           4
        .value_kind:     by_value
      - .address_space:  global
        .offset:         8
        .size:           8
        .value_kind:     global_buffer
      - .offset:         16
        .size:           8
        .value_kind:     by_value
      - .address_space:  global
        .offset:         24
        .size:           8
        .value_kind:     global_buffer
      - .offset:         32
        .size:           8
        .value_kind:     by_value
      - .address_space:  global
        .offset:         40
        .size:           8
        .value_kind:     global_buffer
    .group_segment_fixed_size: 0
    .kernarg_segment_align: 8
    .kernarg_segment_size: 48
    .language:       OpenCL C
    .language_version:
      - 2
      - 0
    .max_flat_workgroup_size: 512
    .name:           _ZN9rocsolver6v33100L20stedcx_divide_kernelIfEEviPT_lS3_lPi
    .private_segment_fixed_size: 0
    .sgpr_count:     34
    .sgpr_spill_count: 0
    .symbol:         _ZN9rocsolver6v33100L20stedcx_divide_kernelIfEEviPT_lS3_lPi.kd
    .uniform_work_group_size: 1
    .uses_dynamic_stack: false
    .vgpr_count:     20
    .vgpr_spill_count: 0
    .wavefront_size: 64
  - .agpr_count:     0
    .args:
      - .offset:         0
        .size:           4
        .value_kind:     by_value
      - .address_space:  global
        .offset:         8
        .size:           8
        .value_kind:     global_buffer
      - .offset:         16
        .size:           8
        .value_kind:     by_value
      - .address_space:  global
        .offset:         24
        .size:           8
        .value_kind:     global_buffer
      - .offset:         32
        .size:           8
        .value_kind:     by_value
      - .address_space:  global
        .offset:         40
        .size:           8
        .value_kind:     global_buffer
      - .offset:         48
        .size:           4
        .value_kind:     by_value
      - .offset:         52
        .size:           4
        .value_kind:     by_value
      - .offset:         56
        .size:           8
        .value_kind:     by_value
      - .address_space:  global
        .offset:         64
        .size:           8
        .value_kind:     global_buffer
      - .address_space:  global
        .offset:         72
        .size:           8
        .value_kind:     global_buffer
      - .address_space:  global
        .offset:         80
        .size:           8
        .value_kind:     global_buffer
      - .offset:         88
        .size:           4
        .value_kind:     by_value
      - .offset:         92
        .size:           4
        .value_kind:     by_value
      - .offset:         96
        .size:           4
        .value_kind:     by_value
      - .offset:         104
        .size:           4
        .value_kind:     hidden_block_count_x
      - .offset:         108
        .size:           4
        .value_kind:     hidden_block_count_y
      - .offset:         112
        .size:           4
        .value_kind:     hidden_block_count_z
      - .offset:         116
        .size:           2
        .value_kind:     hidden_group_size_x
      - .offset:         118
        .size:           2
        .value_kind:     hidden_group_size_y
      - .offset:         120
        .size:           2
        .value_kind:     hidden_group_size_z
      - .offset:         122
        .size:           2
        .value_kind:     hidden_remainder_x
      - .offset:         124
        .size:           2
        .value_kind:     hidden_remainder_y
      - .offset:         126
        .size:           2
        .value_kind:     hidden_remainder_z
      - .offset:         144
        .size:           8
        .value_kind:     hidden_global_offset_x
      - .offset:         152
        .size:           8
        .value_kind:     hidden_global_offset_y
      - .offset:         160
        .size:           8
        .value_kind:     hidden_global_offset_z
      - .offset:         168
        .size:           2
        .value_kind:     hidden_grid_dims
    .group_segment_fixed_size: 36
    .kernarg_segment_align: 8
    .kernarg_segment_size: 360
    .language:       OpenCL C
    .language_version:
      - 2
      - 0
    .max_flat_workgroup_size: 512
    .name:           _ZN9rocsolver6v33100L19stedcx_solve_kernelIfEEviPT_lS3_lS3_iilPiS3_S4_S2_S2_S2_
    .private_segment_fixed_size: 0
    .sgpr_count:     100
    .sgpr_spill_count: 21
    .symbol:         _ZN9rocsolver6v33100L19stedcx_solve_kernelIfEEviPT_lS3_lS3_iilPiS3_S4_S2_S2_S2_.kd
    .uniform_work_group_size: 1
    .uses_dynamic_stack: false
    .vgpr_count:     67
    .vgpr_spill_count: 0
    .wavefront_size: 64
  - .agpr_count:     0
    .args:
      - .offset:         0
        .size:           4
        .value_kind:     by_value
      - .offset:         4
        .size:           4
        .value_kind:     by_value
      - .address_space:  global
        .offset:         8
        .size:           8
        .value_kind:     global_buffer
      - .offset:         16
        .size:           8
        .value_kind:     by_value
      - .address_space:  global
        .offset:         24
        .size:           8
        .value_kind:     global_buffer
      - .offset:         32
        .size:           8
        .value_kind:     by_value
      - .address_space:  global
        .offset:         40
        .size:           8
        .value_kind:     global_buffer
      - .offset:         48
        .size:           4
        .value_kind:     by_value
      - .offset:         52
        .size:           4
        .value_kind:     by_value
      - .offset:         56
        .size:           8
        .value_kind:     by_value
      - .address_space:  global
        .offset:         64
        .size:           8
        .value_kind:     global_buffer
      - .address_space:  global
        .offset:         72
        .size:           8
        .value_kind:     global_buffer
      - .address_space:  global
        .offset:         80
        .size:           8
        .value_kind:     global_buffer
      - .offset:         88
        .size:           4
        .value_kind:     by_value
      - .offset:         96
        .size:           4
        .value_kind:     hidden_block_count_x
      - .offset:         100
        .size:           4
        .value_kind:     hidden_block_count_y
      - .offset:         104
        .size:           4
        .value_kind:     hidden_block_count_z
      - .offset:         108
        .size:           2
        .value_kind:     hidden_group_size_x
      - .offset:         110
        .size:           2
        .value_kind:     hidden_group_size_y
      - .offset:         112
        .size:           2
        .value_kind:     hidden_group_size_z
      - .offset:         114
        .size:           2
        .value_kind:     hidden_remainder_x
      - .offset:         116
        .size:           2
        .value_kind:     hidden_remainder_y
      - .offset:         118
        .size:           2
        .value_kind:     hidden_remainder_z
      - .offset:         136
        .size:           8
        .value_kind:     hidden_global_offset_x
      - .offset:         144
        .size:           8
        .value_kind:     hidden_global_offset_y
      - .offset:         152
        .size:           8
        .value_kind:     hidden_global_offset_z
      - .offset:         160
        .size:           2
        .value_kind:     hidden_grid_dims
      - .offset:         216
        .size:           4
        .value_kind:     hidden_dynamic_lds_size
    .group_segment_fixed_size: 0
    .kernarg_segment_align: 8
    .kernarg_segment_size: 352
    .language:       OpenCL C
    .language_version:
      - 2
      - 0
    .max_flat_workgroup_size: 512
    .name:           _ZN9rocsolver6v33100L26stedcx_mergePrepare_kernelIfEEviiPT_lS3_lS3_iilS3_S3_PiS2_
    .private_segment_fixed_size: 0
    .sgpr_count:     94
    .sgpr_spill_count: 0
    .symbol:         _ZN9rocsolver6v33100L26stedcx_mergePrepare_kernelIfEEviiPT_lS3_lS3_iilS3_S3_PiS2_.kd
    .uniform_work_group_size: 1
    .uses_dynamic_stack: false
    .vgpr_count:     35
    .vgpr_spill_count: 0
    .wavefront_size: 64
  - .agpr_count:     0
    .args:
      - .offset:         0
        .size:           4
        .value_kind:     by_value
      - .offset:         4
        .size:           4
        .value_kind:     by_value
      - .address_space:  global
        .offset:         8
        .size:           8
        .value_kind:     global_buffer
      - .offset:         16
        .size:           8
        .value_kind:     by_value
      - .address_space:  global
        .offset:         24
        .size:           8
        .value_kind:     global_buffer
      - .offset:         32
        .size:           8
        .value_kind:     by_value
      - .address_space:  global
        .offset:         40
        .size:           8
        .value_kind:     global_buffer
      - .address_space:  global
        .offset:         48
        .size:           8
        .value_kind:     global_buffer
      - .address_space:  global
        .offset:         56
        .size:           8
        .value_kind:     global_buffer
      - .offset:         64
        .size:           4
        .value_kind:     by_value
      - .offset:         68
        .size:           4
        .value_kind:     by_value
      - .offset:         72
        .size:           4
        .value_kind:     by_value
      - .offset:         80
        .size:           4
        .value_kind:     hidden_block_count_x
      - .offset:         84
        .size:           4
        .value_kind:     hidden_block_count_y
      - .offset:         88
        .size:           4
        .value_kind:     hidden_block_count_z
      - .offset:         92
        .size:           2
        .value_kind:     hidden_group_size_x
      - .offset:         94
        .size:           2
        .value_kind:     hidden_group_size_y
      - .offset:         96
        .size:           2
        .value_kind:     hidden_group_size_z
      - .offset:         98
        .size:           2
        .value_kind:     hidden_remainder_x
      - .offset:         100
        .size:           2
        .value_kind:     hidden_remainder_y
      - .offset:         102
        .size:           2
        .value_kind:     hidden_remainder_z
      - .offset:         120
        .size:           8
        .value_kind:     hidden_global_offset_x
      - .offset:         128
        .size:           8
        .value_kind:     hidden_global_offset_y
      - .offset:         136
        .size:           8
        .value_kind:     hidden_global_offset_z
      - .offset:         144
        .size:           2
        .value_kind:     hidden_grid_dims
    .group_segment_fixed_size: 0
    .kernarg_segment_align: 8
    .kernarg_segment_size: 336
    .language:       OpenCL C
    .language_version:
      - 2
      - 0
    .max_flat_workgroup_size: 512
    .name:           _ZN9rocsolver6v33100L25stedcx_mergeValues_kernelIfEEviiPT_lS3_lS3_S3_PiS2_S2_S2_
    .private_segment_fixed_size: 0
    .sgpr_count:     100
    .sgpr_spill_count: 65
    .symbol:         _ZN9rocsolver6v33100L25stedcx_mergeValues_kernelIfEEviiPT_lS3_lS3_S3_PiS2_S2_S2_.kd
    .uniform_work_group_size: 1
    .uses_dynamic_stack: false
    .vgpr_count:     57
    .vgpr_spill_count: 0
    .wavefront_size: 64
  - .agpr_count:     0
    .args:
      - .offset:         0
        .size:           4
        .value_kind:     by_value
      - .offset:         4
        .size:           4
        .value_kind:     by_value
      - .address_space:  global
        .offset:         8
        .size:           8
        .value_kind:     global_buffer
      - .offset:         16
        .size:           8
        .value_kind:     by_value
      - .address_space:  global
        .offset:         24
        .size:           8
        .value_kind:     global_buffer
      - .offset:         32
        .size:           8
        .value_kind:     by_value
      - .address_space:  global
        .offset:         40
        .size:           8
        .value_kind:     global_buffer
      - .offset:         48
        .size:           4
        .value_kind:     by_value
      - .offset:         52
        .size:           4
        .value_kind:     by_value
      - .offset:         56
        .size:           8
        .value_kind:     by_value
      - .address_space:  global
        .offset:         64
        .size:           8
        .value_kind:     global_buffer
      - .address_space:  global
        .offset:         72
        .size:           8
        .value_kind:     global_buffer
      - .address_space:  global
        .offset:         80
        .size:           8
        .value_kind:     global_buffer
      - .offset:         88
        .size:           4
        .value_kind:     hidden_block_count_x
      - .offset:         92
        .size:           4
        .value_kind:     hidden_block_count_y
      - .offset:         96
        .size:           4
        .value_kind:     hidden_block_count_z
      - .offset:         100
        .size:           2
        .value_kind:     hidden_group_size_x
      - .offset:         102
        .size:           2
        .value_kind:     hidden_group_size_y
      - .offset:         104
        .size:           2
        .value_kind:     hidden_group_size_z
      - .offset:         106
        .size:           2
        .value_kind:     hidden_remainder_x
      - .offset:         108
        .size:           2
        .value_kind:     hidden_remainder_y
      - .offset:         110
        .size:           2
        .value_kind:     hidden_remainder_z
      - .offset:         128
        .size:           8
        .value_kind:     hidden_global_offset_x
      - .offset:         136
        .size:           8
        .value_kind:     hidden_global_offset_y
      - .offset:         144
        .size:           8
        .value_kind:     hidden_global_offset_z
      - .offset:         152
        .size:           2
        .value_kind:     hidden_grid_dims
      - .offset:         208
        .size:           4
        .value_kind:     hidden_dynamic_lds_size
    .group_segment_fixed_size: 0
    .kernarg_segment_align: 8
    .kernarg_segment_size: 344
    .language:       OpenCL C
    .language_version:
      - 2
      - 0
    .max_flat_workgroup_size: 512
    .name:           _ZN9rocsolver6v33100L26stedcx_mergeVectors_kernelILb0EfEEviiPT0_lS3_lS3_iilS3_S3_Pi
    .private_segment_fixed_size: 0
    .sgpr_count:     66
    .sgpr_spill_count: 0
    .symbol:         _ZN9rocsolver6v33100L26stedcx_mergeVectors_kernelILb0EfEEviiPT0_lS3_lS3_iilS3_S3_Pi.kd
    .uniform_work_group_size: 1
    .uses_dynamic_stack: false
    .vgpr_count:     25
    .vgpr_spill_count: 0
    .wavefront_size: 64
  - .agpr_count:     0
    .args:
      - .offset:         0
        .size:           4
        .value_kind:     by_value
      - .offset:         4
        .size:           4
        .value_kind:     by_value
      - .address_space:  global
        .offset:         8
        .size:           8
        .value_kind:     global_buffer
      - .offset:         16
        .size:           8
        .value_kind:     by_value
      - .address_space:  global
        .offset:         24
        .size:           8
        .value_kind:     global_buffer
      - .offset:         32
        .size:           4
        .value_kind:     by_value
      - .offset:         36
        .size:           4
        .value_kind:     by_value
      - .offset:         40
        .size:           8
        .value_kind:     by_value
      - .address_space:  global
        .offset:         48
        .size:           8
        .value_kind:     global_buffer
      - .address_space:  global
        .offset:         56
        .size:           8
        .value_kind:     global_buffer
      - .address_space:  global
        .offset:         64
        .size:           8
        .value_kind:     global_buffer
      - .offset:         72
        .size:           4
        .value_kind:     hidden_block_count_x
      - .offset:         76
        .size:           4
        .value_kind:     hidden_block_count_y
      - .offset:         80
        .size:           4
        .value_kind:     hidden_block_count_z
      - .offset:         84
        .size:           2
        .value_kind:     hidden_group_size_x
      - .offset:         86
        .size:           2
        .value_kind:     hidden_group_size_y
      - .offset:         88
        .size:           2
        .value_kind:     hidden_group_size_z
      - .offset:         90
        .size:           2
        .value_kind:     hidden_remainder_x
      - .offset:         92
        .size:           2
        .value_kind:     hidden_remainder_y
      - .offset:         94
        .size:           2
        .value_kind:     hidden_remainder_z
      - .offset:         112
        .size:           8
        .value_kind:     hidden_global_offset_x
      - .offset:         120
        .size:           8
        .value_kind:     hidden_global_offset_y
      - .offset:         128
        .size:           8
        .value_kind:     hidden_global_offset_z
      - .offset:         136
        .size:           2
        .value_kind:     hidden_grid_dims
    .group_segment_fixed_size: 0
    .kernarg_segment_align: 8
    .kernarg_segment_size: 328
    .language:       OpenCL C
    .language_version:
      - 2
      - 0
    .max_flat_workgroup_size: 512
    .name:           _ZN9rocsolver6v33100L25stedcx_mergeUpdate_kernelIfEEviiPT_lS3_iilS3_S3_Pi
    .private_segment_fixed_size: 0
    .sgpr_count:     52
    .sgpr_spill_count: 0
    .symbol:         _ZN9rocsolver6v33100L25stedcx_mergeUpdate_kernelIfEEviiPT_lS3_iilS3_S3_Pi.kd
    .uniform_work_group_size: 1
    .uses_dynamic_stack: false
    .vgpr_count:     13
    .vgpr_spill_count: 0
    .wavefront_size: 64
  - .agpr_count:     0
    .args:
      - .offset:         0
        .size:           4
        .value_kind:     by_value
      - .offset:         4
        .size:           4
        .value_kind:     by_value
      - .offset:         8
        .size:           4
        .value_kind:     by_value
      - .offset:         12
        .size:           4
        .value_kind:     by_value
      - .address_space:  global
        .offset:         16
        .size:           8
        .value_kind:     global_buffer
      - .offset:         24
        .size:           8
        .value_kind:     by_value
      - .address_space:  global
        .offset:         32
        .size:           8
        .value_kind:     global_buffer
      - .address_space:  global
        .offset:         40
        .size:           8
        .value_kind:     global_buffer
      - .offset:         48
        .size:           8
        .value_kind:     by_value
      - .address_space:  global
        .offset:         56
        .size:           8
        .value_kind:     global_buffer
      - .offset:         64
        .size:           4
        .value_kind:     by_value
      - .offset:         72
        .size:           8
        .value_kind:     by_value
      - .offset:         80
        .size:           4
        .value_kind:     by_value
      - .address_space:  global
        .offset:         88
        .size:           8
        .value_kind:     global_buffer
      - .address_space:  global
        .offset:         96
        .size:           8
        .value_kind:     global_buffer
      - .offset:         104
        .size:           4
        .value_kind:     by_value
      - .offset:         112
        .size:           4
        .value_kind:     hidden_block_count_x
      - .offset:         116
        .size:           4
        .value_kind:     hidden_block_count_y
      - .offset:         120
        .size:           4
        .value_kind:     hidden_block_count_z
      - .offset:         124
        .size:           2
        .value_kind:     hidden_group_size_x
      - .offset:         126
        .size:           2
        .value_kind:     hidden_group_size_y
      - .offset:         128
        .size:           2
        .value_kind:     hidden_group_size_z
      - .offset:         130
        .size:           2
        .value_kind:     hidden_remainder_x
      - .offset:         132
        .size:           2
        .value_kind:     hidden_remainder_y
      - .offset:         134
        .size:           2
        .value_kind:     hidden_remainder_z
      - .offset:         152
        .size:           8
        .value_kind:     hidden_global_offset_x
      - .offset:         160
        .size:           8
        .value_kind:     hidden_global_offset_y
      - .offset:         168
        .size:           8
        .value_kind:     hidden_global_offset_z
      - .offset:         176
        .size:           2
        .value_kind:     hidden_grid_dims
    .group_segment_fixed_size: 0
    .kernarg_segment_align: 8
    .kernarg_segment_size: 368
    .language:       OpenCL C
    .language_version:
      - 2
      - 0
    .max_flat_workgroup_size: 512
    .name:           _ZN9rocsolver6v33100L23stedcx_synthesis_kernelIfEEv15rocblas_erange_iiiPT_lPiS4_lS4_iliS5_S4_S3_
    .private_segment_fixed_size: 0
    .sgpr_count:     60
    .sgpr_spill_count: 0
    .symbol:         _ZN9rocsolver6v33100L23stedcx_synthesis_kernelIfEEv15rocblas_erange_iiiPT_lPiS4_lS4_iliS5_S4_S3_.kd
    .uniform_work_group_size: 1
    .uses_dynamic_stack: false
    .vgpr_count:     13
    .vgpr_spill_count: 0
    .wavefront_size: 64
  - .agpr_count:     0
    .args:
      - .offset:         0
        .size:           4
        .value_kind:     by_value
      - .offset:         4
        .size:           4
        .value_kind:     by_value
      - .offset:         8
        .size:           4
        .value_kind:     by_value
      - .address_space:  global
        .offset:         16
        .size:           8
        .value_kind:     global_buffer
      - .offset:         24
        .size:           4
        .value_kind:     by_value
      - .offset:         28
        .size:           4
        .value_kind:     by_value
      - .offset:         32
        .size:           8
        .value_kind:     by_value
      - .address_space:  global
        .offset:         40
        .size:           8
        .value_kind:     global_buffer
      - .offset:         48
        .size:           1
        .value_kind:     by_value
      - .offset:         52
        .size:           4
        .value_kind:     by_value
      - .offset:         56
        .size:           4
        .value_kind:     by_value
      - .offset:         64
        .size:           4
        .value_kind:     hidden_block_count_x
      - .offset:         68
        .size:           4
        .value_kind:     hidden_block_count_y
      - .offset:         72
        .size:           4
        .value_kind:     hidden_block_count_z
      - .offset:         76
        .size:           2
        .value_kind:     hidden_group_size_x
      - .offset:         78
        .size:           2
        .value_kind:     hidden_group_size_y
      - .offset:         80
        .size:           2
        .value_kind:     hidden_group_size_z
      - .offset:         82
        .size:           2
        .value_kind:     hidden_remainder_x
      - .offset:         84
        .size:           2
        .value_kind:     hidden_remainder_y
      - .offset:         86
        .size:           2
        .value_kind:     hidden_remainder_z
      - .offset:         104
        .size:           8
        .value_kind:     hidden_global_offset_x
      - .offset:         112
        .size:           8
        .value_kind:     hidden_global_offset_y
      - .offset:         120
        .size:           8
        .value_kind:     hidden_global_offset_z
      - .offset:         128
        .size:           2
        .value_kind:     hidden_grid_dims
    .group_segment_fixed_size: 0
    .kernarg_segment_align: 8
    .kernarg_segment_size: 320
    .language:       OpenCL C
    .language_version:
      - 2
      - 0
    .max_flat_workgroup_size: 1024
    .name:           _ZN9rocsolver6v33100L8copy_matIfPfNS0_7no_maskEEEvNS0_17copymat_directionEiiT0_iilPT_T1_13rocblas_fill_17rocblas_diagonal_
    .private_segment_fixed_size: 0
    .sgpr_count:     22
    .sgpr_spill_count: 0
    .symbol:         _ZN9rocsolver6v33100L8copy_matIfPfNS0_7no_maskEEEvNS0_17copymat_directionEiiT0_iilPT_T1_13rocblas_fill_17rocblas_diagonal_.kd
    .uniform_work_group_size: 1
    .uses_dynamic_stack: false
    .vgpr_count:     6
    .vgpr_spill_count: 0
    .wavefront_size: 64
  - .agpr_count:     0
    .args:
      - .offset:         0
        .size:           4
        .value_kind:     by_value
      - .address_space:  global
        .offset:         8
        .size:           8
        .value_kind:     global_buffer
      - .offset:         16
        .size:           8
        .value_kind:     by_value
      - .address_space:  global
        .offset:         24
        .size:           8
        .value_kind:     global_buffer
      - .offset:         32
        .size:           4
        .value_kind:     by_value
      - .offset:         36
        .size:           4
        .value_kind:     by_value
      - .offset:         40
        .size:           8
        .value_kind:     by_value
      - .offset:         48
        .size:           4
        .value_kind:     by_value
      - .address_space:  global
        .offset:         56
        .size:           8
        .value_kind:     global_buffer
      - .address_space:  global
        .offset:         64
        .size:           8
        .value_kind:     global_buffer
      - .offset:         72
        .size:           4
        .value_kind:     hidden_block_count_x
      - .offset:         76
        .size:           4
        .value_kind:     hidden_block_count_y
      - .offset:         80
        .size:           4
        .value_kind:     hidden_block_count_z
      - .offset:         84
        .size:           2
        .value_kind:     hidden_group_size_x
      - .offset:         86
        .size:           2
        .value_kind:     hidden_group_size_y
      - .offset:         88
        .size:           2
        .value_kind:     hidden_group_size_z
      - .offset:         90
        .size:           2
        .value_kind:     hidden_remainder_x
      - .offset:         92
        .size:           2
        .value_kind:     hidden_remainder_y
      - .offset:         94
        .size:           2
        .value_kind:     hidden_remainder_z
      - .offset:         112
        .size:           8
        .value_kind:     hidden_global_offset_x
      - .offset:         120
        .size:           8
        .value_kind:     hidden_global_offset_y
      - .offset:         128
        .size:           8
        .value_kind:     hidden_global_offset_z
      - .offset:         136
        .size:           2
        .value_kind:     hidden_grid_dims
      - .offset:         152
        .size:           8
        .value_kind:     hidden_hostcall_buffer
    .group_segment_fixed_size: 0
    .kernarg_segment_align: 8
    .kernarg_segment_size: 328
    .language:       OpenCL C
    .language_version:
      - 2
      - 0
    .max_flat_workgroup_size: 256
    .name:           _ZN9rocsolver6v33100L11stedcx_sortIffPfEEviPT0_lT1_iiliPiS6_
    .private_segment_fixed_size: 64
    .sgpr_count:     89
    .sgpr_spill_count: 0
    .symbol:         _ZN9rocsolver6v33100L11stedcx_sortIffPfEEviPT0_lT1_iiliPiS6_.kd
    .uniform_work_group_size: 1
    .uses_dynamic_stack: false
    .vgpr_count:     51
    .vgpr_spill_count: 0
    .wavefront_size: 64
  - .agpr_count:     0
    .args:
      - .address_space:  global
        .offset:         0
        .size:           8
        .value_kind:     global_buffer
      - .offset:         8
        .size:           8
        .value_kind:     by_value
      - .offset:         16
        .size:           4
        .value_kind:     by_value
      - .offset:         20
        .size:           4
        .value_kind:     by_value
      - .offset:         24
        .size:           4
        .value_kind:     hidden_block_count_x
      - .offset:         28
        .size:           4
        .value_kind:     hidden_block_count_y
      - .offset:         32
        .size:           4
        .value_kind:     hidden_block_count_z
      - .offset:         36
        .size:           2
        .value_kind:     hidden_group_size_x
      - .offset:         38
        .size:           2
        .value_kind:     hidden_group_size_y
      - .offset:         40
        .size:           2
        .value_kind:     hidden_group_size_z
      - .offset:         42
        .size:           2
        .value_kind:     hidden_remainder_x
      - .offset:         44
        .size:           2
        .value_kind:     hidden_remainder_y
      - .offset:         46
        .size:           2
        .value_kind:     hidden_remainder_z
      - .offset:         64
        .size:           8
        .value_kind:     hidden_global_offset_x
      - .offset:         72
        .size:           8
        .value_kind:     hidden_global_offset_y
      - .offset:         80
        .size:           8
        .value_kind:     hidden_global_offset_z
      - .offset:         88
        .size:           2
        .value_kind:     hidden_grid_dims
    .group_segment_fixed_size: 0
    .kernarg_segment_align: 8
    .kernarg_segment_size: 280
    .language:       OpenCL C
    .language_version:
      - 2
      - 0
    .max_flat_workgroup_size: 1024
    .name:           _ZN9rocsolver6v33100L16reset_batch_infoIdiiPdEEvT2_lT0_T1_
    .private_segment_fixed_size: 0
    .sgpr_count:     16
    .sgpr_spill_count: 0
    .symbol:         _ZN9rocsolver6v33100L16reset_batch_infoIdiiPdEEvT2_lT0_T1_.kd
    .uniform_work_group_size: 1
    .uses_dynamic_stack: false
    .vgpr_count:     4
    .vgpr_spill_count: 0
    .wavefront_size: 64
  - .agpr_count:     0
    .args:
      - .offset:         0
        .size:           4
        .value_kind:     by_value
      - .offset:         8
        .size:           8
        .value_kind:     by_value
      - .offset:         16
        .size:           8
        .value_kind:     by_value
      - .address_space:  global
        .offset:         24
        .size:           8
        .value_kind:     global_buffer
      - .offset:         32
        .size:           8
        .value_kind:     by_value
      - .address_space:  global
        .offset:         40
        .size:           8
        .value_kind:     global_buffer
      - .address_space:  global
        .offset:         48
        .size:           8
        .value_kind:     global_buffer
      - .offset:         56
        .size:           8
        .value_kind:     by_value
    .group_segment_fixed_size: 0
    .kernarg_segment_align: 8
    .kernarg_segment_size: 64
    .language:       OpenCL C
    .language_version:
      - 2
      - 0
    .max_flat_workgroup_size: 1024
    .name:           _ZN9rocsolver6v33100L19stedcx_case1_kernelIdEEv15rocblas_erange_T_S3_PS3_lPiS4_l
    .private_segment_fixed_size: 0
    .sgpr_count:     25
    .sgpr_spill_count: 0
    .symbol:         _ZN9rocsolver6v33100L19stedcx_case1_kernelIdEEv15rocblas_erange_T_S3_PS3_lPiS4_l.kd
    .uniform_work_group_size: 1
    .uses_dynamic_stack: false
    .vgpr_count:     4
    .vgpr_spill_count: 0
    .wavefront_size: 64
  - .agpr_count:     0
    .args:
      - .offset:         0
        .size:           4
        .value_kind:     by_value
      - .offset:         4
        .size:           4
        .value_kind:     by_value
      - .address_space:  global
        .offset:         8
        .size:           8
        .value_kind:     global_buffer
      - .offset:         16
        .size:           4
        .value_kind:     by_value
      - .offset:         20
        .size:           4
        .value_kind:     by_value
      - .offset:         24
        .size:           8
        .value_kind:     by_value
      - .offset:         32
        .size:           4
        .value_kind:     hidden_block_count_x
      - .offset:         36
        .size:           4
        .value_kind:     hidden_block_count_y
      - .offset:         40
        .size:           4
        .value_kind:     hidden_block_count_z
      - .offset:         44
        .size:           2
        .value_kind:     hidden_group_size_x
      - .offset:         46
        .size:           2
        .value_kind:     hidden_group_size_y
      - .offset:         48
        .size:           2
        .value_kind:     hidden_group_size_z
      - .offset:         50
        .size:           2
        .value_kind:     hidden_remainder_x
      - .offset:         52
        .size:           2
        .value_kind:     hidden_remainder_y
      - .offset:         54
        .size:           2
        .value_kind:     hidden_remainder_z
      - .offset:         72
        .size:           8
        .value_kind:     hidden_global_offset_x
      - .offset:         80
        .size:           8
        .value_kind:     hidden_global_offset_y
      - .offset:         88
        .size:           8
        .value_kind:     hidden_global_offset_z
      - .offset:         96
        .size:           2
        .value_kind:     hidden_grid_dims
    .group_segment_fixed_size: 0
    .kernarg_segment_align: 8
    .kernarg_segment_size: 288
    .language:       OpenCL C
    .language_version:
      - 2
      - 0
    .max_flat_workgroup_size: 1024
    .name:           _ZN9rocsolver6v33100L10init_identIdPdEEviiT0_iil
    .private_segment_fixed_size: 0
    .sgpr_count:     13
    .sgpr_spill_count: 0
    .symbol:         _ZN9rocsolver6v33100L10init_identIdPdEEviiT0_iil.kd
    .uniform_work_group_size: 1
    .uses_dynamic_stack: false
    .vgpr_count:     6
    .vgpr_spill_count: 0
    .wavefront_size: 64
  - .agpr_count:     0
    .args:
      - .offset:         0
        .size:           4
        .value_kind:     by_value
      - .offset:         4
        .size:           4
        .value_kind:     by_value
      - .offset:         8
        .size:           8
        .value_kind:     by_value
      - .offset:         16
        .size:           8
        .value_kind:     by_value
      - .offset:         24
        .size:           4
        .value_kind:     by_value
      - .offset:         28
        .size:           4
        .value_kind:     by_value
      - .address_space:  global
        .offset:         32
        .size:           8
        .value_kind:     global_buffer
      - .offset:         40
        .size:           8
        .value_kind:     by_value
      - .address_space:  global
        .offset:         48
        .size:           8
        .value_kind:     global_buffer
      - .offset:         56
        .size:           8
        .value_kind:     by_value
      - .address_space:  global
        .offset:         64
        .size:           8
        .value_kind:     global_buffer
      - .offset:         72
        .size:           8
        .value_kind:     by_value
      - .address_space:  global
        .offset:         80
        .size:           8
        .value_kind:     global_buffer
      - .address_space:  global
        .offset:         88
        .size:           8
        .value_kind:     global_buffer
      - .offset:         96
        .size:           8
        .value_kind:     by_value
      - .offset:         104
        .size:           8
        .value_kind:     by_value
      - .offset:         112
        .size:           4
        .value_kind:     hidden_block_count_x
      - .offset:         116
        .size:           4
        .value_kind:     hidden_block_count_y
      - .offset:         120
        .size:           4
        .value_kind:     hidden_block_count_z
      - .offset:         124
        .size:           2
        .value_kind:     hidden_group_size_x
      - .offset:         126
        .size:           2
        .value_kind:     hidden_group_size_y
      - .offset:         128
        .size:           2
        .value_kind:     hidden_group_size_z
      - .offset:         130
        .size:           2
        .value_kind:     hidden_remainder_x
      - .offset:         132
        .size:           2
        .value_kind:     hidden_remainder_y
      - .offset:         134
        .size:           2
        .value_kind:     hidden_remainder_z
      - .offset:         152
        .size:           8
        .value_kind:     hidden_global_offset_x
      - .offset:         160
        .size:           8
        .value_kind:     hidden_global_offset_y
      - .offset:         168
        .size:           8
        .value_kind:     hidden_global_offset_z
      - .offset:         176
        .size:           2
        .value_kind:     hidden_grid_dims
    .group_segment_fixed_size: 3072
    .kernarg_segment_align: 8
    .kernarg_segment_size: 368
    .language:       OpenCL C
    .language_version:
      - 2
      - 0
    .max_flat_workgroup_size: 256
    .name:           _ZN9rocsolver6v33100L19stedcx_split_kernelIdEEv15rocblas_erange_iT_S3_iiPS3_lS4_lS4_lPiS4_S3_S3_
    .private_segment_fixed_size: 0
    .sgpr_count:     72
    .sgpr_spill_count: 0
    .symbol:         _ZN9rocsolver6v33100L19stedcx_split_kernelIdEEv15rocblas_erange_iT_S3_iiPS3_lS4_lS4_lPiS4_S3_S3_.kd
    .uniform_work_group_size: 1
    .uses_dynamic_stack: false
    .vgpr_count:     48
    .vgpr_spill_count: 0
    .wavefront_size: 64
  - .agpr_count:     0
    .args:
      - .offset:         0
        .size:           4
        .value_kind:     by_value
      - .address_space:  global
        .offset:         8
        .size:           8
        .value_kind:     global_buffer
      - .offset:         16
        .size:           8
        .value_kind:     by_value
      - .address_space:  global
        .offset:         24
        .size:           8
        .value_kind:     global_buffer
      - .offset:         32
        .size:           8
        .value_kind:     by_value
      - .address_space:  global
        .offset:         40
        .size:           8
        .value_kind:     global_buffer
    .group_segment_fixed_size: 0
    .kernarg_segment_align: 8
    .kernarg_segment_size: 48
    .language:       OpenCL C
    .language_version:
      - 2
      - 0
    .max_flat_workgroup_size: 512
    .name:           _ZN9rocsolver6v33100L20stedcx_divide_kernelIdEEviPT_lS3_lPi
    .private_segment_fixed_size: 0
    .sgpr_count:     34
    .sgpr_spill_count: 0
    .symbol:         _ZN9rocsolver6v33100L20stedcx_divide_kernelIdEEviPT_lS3_lPi.kd
    .uniform_work_group_size: 1
    .uses_dynamic_stack: false
    .vgpr_count:     22
    .vgpr_spill_count: 0
    .wavefront_size: 64
  - .agpr_count:     0
    .args:
      - .offset:         0
        .size:           4
        .value_kind:     by_value
      - .address_space:  global
        .offset:         8
        .size:           8
        .value_kind:     global_buffer
      - .offset:         16
        .size:           8
        .value_kind:     by_value
      - .address_space:  global
        .offset:         24
        .size:           8
        .value_kind:     global_buffer
      - .offset:         32
        .size:           8
        .value_kind:     by_value
      - .address_space:  global
        .offset:         40
        .size:           8
        .value_kind:     global_buffer
      - .offset:         48
        .size:           4
        .value_kind:     by_value
      - .offset:         52
        .size:           4
        .value_kind:     by_value
      - .offset:         56
        .size:           8
        .value_kind:     by_value
      - .address_space:  global
        .offset:         64
        .size:           8
        .value_kind:     global_buffer
      - .address_space:  global
        .offset:         72
        .size:           8
        .value_kind:     global_buffer
      - .address_space:  global
        .offset:         80
        .size:           8
        .value_kind:     global_buffer
      - .offset:         88
        .size:           8
        .value_kind:     by_value
      - .offset:         96
        .size:           8
        .value_kind:     by_value
      - .offset:         104
        .size:           8
        .value_kind:     by_value
      - .offset:         112
        .size:           4
        .value_kind:     hidden_block_count_x
      - .offset:         116
        .size:           4
        .value_kind:     hidden_block_count_y
      - .offset:         120
        .size:           4
        .value_kind:     hidden_block_count_z
      - .offset:         124
        .size:           2
        .value_kind:     hidden_group_size_x
      - .offset:         126
        .size:           2
        .value_kind:     hidden_group_size_y
      - .offset:         128
        .size:           2
        .value_kind:     hidden_group_size_z
      - .offset:         130
        .size:           2
        .value_kind:     hidden_remainder_x
      - .offset:         132
        .size:           2
        .value_kind:     hidden_remainder_y
      - .offset:         134
        .size:           2
        .value_kind:     hidden_remainder_z
      - .offset:         152
        .size:           8
        .value_kind:     hidden_global_offset_x
      - .offset:         160
        .size:           8
        .value_kind:     hidden_global_offset_y
      - .offset:         168
        .size:           8
        .value_kind:     hidden_global_offset_z
      - .offset:         176
        .size:           2
        .value_kind:     hidden_grid_dims
    .group_segment_fixed_size: 48
    .kernarg_segment_align: 8
    .kernarg_segment_size: 368
    .language:       OpenCL C
    .language_version:
      - 2
      - 0
    .max_flat_workgroup_size: 512
    .name:           _ZN9rocsolver6v33100L19stedcx_solve_kernelIdEEviPT_lS3_lS3_iilPiS3_S4_S2_S2_S2_
    .private_segment_fixed_size: 0
    .sgpr_count:     100
    .sgpr_spill_count: 29
    .symbol:         _ZN9rocsolver6v33100L19stedcx_solve_kernelIdEEviPT_lS3_lS3_iilPiS3_S4_S2_S2_S2_.kd
    .uniform_work_group_size: 1
    .uses_dynamic_stack: false
    .vgpr_count:     73
    .vgpr_spill_count: 0
    .wavefront_size: 64
  - .agpr_count:     0
    .args:
      - .offset:         0
        .size:           4
        .value_kind:     by_value
      - .offset:         4
        .size:           4
        .value_kind:     by_value
      - .address_space:  global
        .offset:         8
        .size:           8
        .value_kind:     global_buffer
      - .offset:         16
        .size:           8
        .value_kind:     by_value
      - .address_space:  global
        .offset:         24
        .size:           8
        .value_kind:     global_buffer
      - .offset:         32
        .size:           8
        .value_kind:     by_value
      - .address_space:  global
        .offset:         40
        .size:           8
        .value_kind:     global_buffer
      - .offset:         48
        .size:           4
        .value_kind:     by_value
      - .offset:         52
        .size:           4
        .value_kind:     by_value
      - .offset:         56
        .size:           8
        .value_kind:     by_value
      - .address_space:  global
        .offset:         64
        .size:           8
        .value_kind:     global_buffer
      - .address_space:  global
        .offset:         72
        .size:           8
        .value_kind:     global_buffer
      - .address_space:  global
        .offset:         80
        .size:           8
        .value_kind:     global_buffer
      - .offset:         88
        .size:           8
        .value_kind:     by_value
      - .offset:         96
        .size:           4
        .value_kind:     hidden_block_count_x
      - .offset:         100
        .size:           4
        .value_kind:     hidden_block_count_y
      - .offset:         104
        .size:           4
        .value_kind:     hidden_block_count_z
      - .offset:         108
        .size:           2
        .value_kind:     hidden_group_size_x
      - .offset:         110
        .size:           2
        .value_kind:     hidden_group_size_y
      - .offset:         112
        .size:           2
        .value_kind:     hidden_group_size_z
      - .offset:         114
        .size:           2
        .value_kind:     hidden_remainder_x
      - .offset:         116
        .size:           2
        .value_kind:     hidden_remainder_y
      - .offset:         118
        .size:           2
        .value_kind:     hidden_remainder_z
      - .offset:         136
        .size:           8
        .value_kind:     hidden_global_offset_x
      - .offset:         144
        .size:           8
        .value_kind:     hidden_global_offset_y
      - .offset:         152
        .size:           8
        .value_kind:     hidden_global_offset_z
      - .offset:         160
        .size:           2
        .value_kind:     hidden_grid_dims
      - .offset:         216
        .size:           4
        .value_kind:     hidden_dynamic_lds_size
    .group_segment_fixed_size: 0
    .kernarg_segment_align: 8
    .kernarg_segment_size: 352
    .language:       OpenCL C
    .language_version:
      - 2
      - 0
    .max_flat_workgroup_size: 512
    .name:           _ZN9rocsolver6v33100L26stedcx_mergePrepare_kernelIdEEviiPT_lS3_lS3_iilS3_S3_PiS2_
    .private_segment_fixed_size: 0
    .sgpr_count:     96
    .sgpr_spill_count: 0
    .symbol:         _ZN9rocsolver6v33100L26stedcx_mergePrepare_kernelIdEEviiPT_lS3_lS3_iilS3_S3_PiS2_.kd
    .uniform_work_group_size: 1
    .uses_dynamic_stack: false
    .vgpr_count:     46
    .vgpr_spill_count: 0
    .wavefront_size: 64
  - .agpr_count:     0
    .args:
      - .offset:         0
        .size:           4
        .value_kind:     by_value
      - .offset:         4
        .size:           4
        .value_kind:     by_value
      - .address_space:  global
        .offset:         8
        .size:           8
        .value_kind:     global_buffer
      - .offset:         16
        .size:           8
        .value_kind:     by_value
      - .address_space:  global
        .offset:         24
        .size:           8
        .value_kind:     global_buffer
      - .offset:         32
        .size:           8
        .value_kind:     by_value
      - .address_space:  global
        .offset:         40
        .size:           8
        .value_kind:     global_buffer
      - .address_space:  global
        .offset:         48
        .size:           8
        .value_kind:     global_buffer
      - .address_space:  global
        .offset:         56
        .size:           8
        .value_kind:     global_buffer
      - .offset:         64
        .size:           8
        .value_kind:     by_value
      - .offset:         72
        .size:           8
        .value_kind:     by_value
      - .offset:         80
        .size:           8
        .value_kind:     by_value
      - .offset:         88
        .size:           4
        .value_kind:     hidden_block_count_x
      - .offset:         92
        .size:           4
        .value_kind:     hidden_block_count_y
      - .offset:         96
        .size:           4
        .value_kind:     hidden_block_count_z
      - .offset:         100
        .size:           2
        .value_kind:     hidden_group_size_x
      - .offset:         102
        .size:           2
        .value_kind:     hidden_group_size_y
      - .offset:         104
        .size:           2
        .value_kind:     hidden_group_size_z
      - .offset:         106
        .size:           2
        .value_kind:     hidden_remainder_x
      - .offset:         108
        .size:           2
        .value_kind:     hidden_remainder_y
      - .offset:         110
        .size:           2
        .value_kind:     hidden_remainder_z
      - .offset:         128
        .size:           8
        .value_kind:     hidden_global_offset_x
      - .offset:         136
        .size:           8
        .value_kind:     hidden_global_offset_y
      - .offset:         144
        .size:           8
        .value_kind:     hidden_global_offset_z
      - .offset:         152
        .size:           2
        .value_kind:     hidden_grid_dims
    .group_segment_fixed_size: 0
    .kernarg_segment_align: 8
    .kernarg_segment_size: 344
    .language:       OpenCL C
    .language_version:
      - 2
      - 0
    .max_flat_workgroup_size: 512
    .name:           _ZN9rocsolver6v33100L25stedcx_mergeValues_kernelIdEEviiPT_lS3_lS3_S3_PiS2_S2_S2_
    .private_segment_fixed_size: 0
    .sgpr_count:     100
    .sgpr_spill_count: 56
    .symbol:         _ZN9rocsolver6v33100L25stedcx_mergeValues_kernelIdEEviiPT_lS3_lS3_S3_PiS2_S2_S2_.kd
    .uniform_work_group_size: 1
    .uses_dynamic_stack: false
    .vgpr_count:     81
    .vgpr_spill_count: 0
    .wavefront_size: 64
  - .agpr_count:     0
    .args:
      - .offset:         0
        .size:           4
        .value_kind:     by_value
      - .offset:         4
        .size:           4
        .value_kind:     by_value
      - .address_space:  global
        .offset:         8
        .size:           8
        .value_kind:     global_buffer
      - .offset:         16
        .size:           8
        .value_kind:     by_value
      - .address_space:  global
        .offset:         24
        .size:           8
        .value_kind:     global_buffer
      - .offset:         32
        .size:           8
        .value_kind:     by_value
      - .address_space:  global
        .offset:         40
        .size:           8
        .value_kind:     global_buffer
      - .offset:         48
        .size:           4
        .value_kind:     by_value
      - .offset:         52
        .size:           4
        .value_kind:     by_value
      - .offset:         56
        .size:           8
        .value_kind:     by_value
      - .address_space:  global
        .offset:         64
        .size:           8
        .value_kind:     global_buffer
      - .address_space:  global
        .offset:         72
        .size:           8
        .value_kind:     global_buffer
      - .address_space:  global
        .offset:         80
        .size:           8
        .value_kind:     global_buffer
      - .offset:         88
        .size:           4
        .value_kind:     hidden_block_count_x
      - .offset:         92
        .size:           4
        .value_kind:     hidden_block_count_y
      - .offset:         96
        .size:           4
        .value_kind:     hidden_block_count_z
      - .offset:         100
        .size:           2
        .value_kind:     hidden_group_size_x
      - .offset:         102
        .size:           2
        .value_kind:     hidden_group_size_y
      - .offset:         104
        .size:           2
        .value_kind:     hidden_group_size_z
      - .offset:         106
        .size:           2
        .value_kind:     hidden_remainder_x
      - .offset:         108
        .size:           2
        .value_kind:     hidden_remainder_y
      - .offset:         110
        .size:           2
        .value_kind:     hidden_remainder_z
      - .offset:         128
        .size:           8
        .value_kind:     hidden_global_offset_x
      - .offset:         136
        .size:           8
        .value_kind:     hidden_global_offset_y
      - .offset:         144
        .size:           8
        .value_kind:     hidden_global_offset_z
      - .offset:         152
        .size:           2
        .value_kind:     hidden_grid_dims
      - .offset:         208
        .size:           4
        .value_kind:     hidden_dynamic_lds_size
    .group_segment_fixed_size: 0
    .kernarg_segment_align: 8
    .kernarg_segment_size: 344
    .language:       OpenCL C
    .language_version:
      - 2
      - 0
    .max_flat_workgroup_size: 512
    .name:           _ZN9rocsolver6v33100L26stedcx_mergeVectors_kernelILb0EdEEviiPT0_lS3_lS3_iilS3_S3_Pi
    .private_segment_fixed_size: 0
    .sgpr_count:     72
    .sgpr_spill_count: 0
    .symbol:         _ZN9rocsolver6v33100L26stedcx_mergeVectors_kernelILb0EdEEviiPT0_lS3_lS3_iilS3_S3_Pi.kd
    .uniform_work_group_size: 1
    .uses_dynamic_stack: false
    .vgpr_count:     32
    .vgpr_spill_count: 0
    .wavefront_size: 64
  - .agpr_count:     0
    .args:
      - .offset:         0
        .size:           4
        .value_kind:     by_value
      - .offset:         4
        .size:           4
        .value_kind:     by_value
      - .address_space:  global
        .offset:         8
        .size:           8
        .value_kind:     global_buffer
      - .offset:         16
        .size:           8
        .value_kind:     by_value
      - .address_space:  global
        .offset:         24
        .size:           8
        .value_kind:     global_buffer
      - .offset:         32
        .size:           4
        .value_kind:     by_value
      - .offset:         36
        .size:           4
        .value_kind:     by_value
      - .offset:         40
        .size:           8
        .value_kind:     by_value
      - .address_space:  global
        .offset:         48
        .size:           8
        .value_kind:     global_buffer
      - .address_space:  global
        .offset:         56
        .size:           8
        .value_kind:     global_buffer
      - .address_space:  global
        .offset:         64
        .size:           8
        .value_kind:     global_buffer
      - .offset:         72
        .size:           4
        .value_kind:     hidden_block_count_x
      - .offset:         76
        .size:           4
        .value_kind:     hidden_block_count_y
      - .offset:         80
        .size:           4
        .value_kind:     hidden_block_count_z
      - .offset:         84
        .size:           2
        .value_kind:     hidden_group_size_x
      - .offset:         86
        .size:           2
        .value_kind:     hidden_group_size_y
      - .offset:         88
        .size:           2
        .value_kind:     hidden_group_size_z
      - .offset:         90
        .size:           2
        .value_kind:     hidden_remainder_x
      - .offset:         92
        .size:           2
        .value_kind:     hidden_remainder_y
      - .offset:         94
        .size:           2
        .value_kind:     hidden_remainder_z
      - .offset:         112
        .size:           8
        .value_kind:     hidden_global_offset_x
      - .offset:         120
        .size:           8
        .value_kind:     hidden_global_offset_y
      - .offset:         128
        .size:           8
        .value_kind:     hidden_global_offset_z
      - .offset:         136
        .size:           2
        .value_kind:     hidden_grid_dims
    .group_segment_fixed_size: 0
    .kernarg_segment_align: 8
    .kernarg_segment_size: 328
    .language:       OpenCL C
    .language_version:
      - 2
      - 0
    .max_flat_workgroup_size: 512
    .name:           _ZN9rocsolver6v33100L25stedcx_mergeUpdate_kernelIdEEviiPT_lS3_iilS3_S3_Pi
    .private_segment_fixed_size: 0
    .sgpr_count:     52
    .sgpr_spill_count: 0
    .symbol:         _ZN9rocsolver6v33100L25stedcx_mergeUpdate_kernelIdEEviiPT_lS3_iilS3_S3_Pi.kd
    .uniform_work_group_size: 1
    .uses_dynamic_stack: false
    .vgpr_count:     14
    .vgpr_spill_count: 0
    .wavefront_size: 64
  - .agpr_count:     0
    .args:
      - .offset:         0
        .size:           4
        .value_kind:     by_value
      - .offset:         4
        .size:           4
        .value_kind:     by_value
      - .offset:         8
        .size:           4
        .value_kind:     by_value
      - .offset:         12
        .size:           4
        .value_kind:     by_value
      - .address_space:  global
        .offset:         16
        .size:           8
        .value_kind:     global_buffer
      - .offset:         24
        .size:           8
        .value_kind:     by_value
      - .address_space:  global
        .offset:         32
        .size:           8
        .value_kind:     global_buffer
      - .address_space:  global
        .offset:         40
        .size:           8
        .value_kind:     global_buffer
      - .offset:         48
        .size:           8
        .value_kind:     by_value
      - .address_space:  global
        .offset:         56
        .size:           8
        .value_kind:     global_buffer
      - .offset:         64
        .size:           4
        .value_kind:     by_value
      - .offset:         72
        .size:           8
        .value_kind:     by_value
      - .offset:         80
        .size:           4
        .value_kind:     by_value
      - .address_space:  global
        .offset:         88
        .size:           8
        .value_kind:     global_buffer
      - .address_space:  global
        .offset:         96
        .size:           8
        .value_kind:     global_buffer
      - .offset:         104
        .size:           8
        .value_kind:     by_value
      - .offset:         112
        .size:           4
        .value_kind:     hidden_block_count_x
      - .offset:         116
        .size:           4
        .value_kind:     hidden_block_count_y
      - .offset:         120
        .size:           4
        .value_kind:     hidden_block_count_z
      - .offset:         124
        .size:           2
        .value_kind:     hidden_group_size_x
      - .offset:         126
        .size:           2
        .value_kind:     hidden_group_size_y
      - .offset:         128
        .size:           2
        .value_kind:     hidden_group_size_z
      - .offset:         130
        .size:           2
        .value_kind:     hidden_remainder_x
      - .offset:         132
        .size:           2
        .value_kind:     hidden_remainder_y
      - .offset:         134
        .size:           2
        .value_kind:     hidden_remainder_z
      - .offset:         152
        .size:           8
        .value_kind:     hidden_global_offset_x
      - .offset:         160
        .size:           8
        .value_kind:     hidden_global_offset_y
      - .offset:         168
        .size:           8
        .value_kind:     hidden_global_offset_z
      - .offset:         176
        .size:           2
        .value_kind:     hidden_grid_dims
    .group_segment_fixed_size: 0
    .kernarg_segment_align: 8
    .kernarg_segment_size: 368
    .language:       OpenCL C
    .language_version:
      - 2
      - 0
    .max_flat_workgroup_size: 512
    .name:           _ZN9rocsolver6v33100L23stedcx_synthesis_kernelIdEEv15rocblas_erange_iiiPT_lPiS4_lS4_iliS5_S4_S3_
    .private_segment_fixed_size: 0
    .sgpr_count:     62
    .sgpr_spill_count: 0
    .symbol:         _ZN9rocsolver6v33100L23stedcx_synthesis_kernelIdEEv15rocblas_erange_iiiPT_lPiS4_lS4_iliS5_S4_S3_.kd
    .uniform_work_group_size: 1
    .uses_dynamic_stack: false
    .vgpr_count:     24
    .vgpr_spill_count: 0
    .wavefront_size: 64
  - .agpr_count:     0
    .args:
      - .offset:         0
        .size:           4
        .value_kind:     by_value
      - .offset:         4
        .size:           4
        .value_kind:     by_value
      - .offset:         8
        .size:           4
        .value_kind:     by_value
      - .address_space:  global
        .offset:         16
        .size:           8
        .value_kind:     global_buffer
      - .offset:         24
        .size:           4
        .value_kind:     by_value
      - .offset:         28
        .size:           4
        .value_kind:     by_value
      - .offset:         32
        .size:           8
        .value_kind:     by_value
      - .address_space:  global
        .offset:         40
        .size:           8
        .value_kind:     global_buffer
      - .offset:         48
        .size:           1
        .value_kind:     by_value
      - .offset:         52
        .size:           4
        .value_kind:     by_value
      - .offset:         56
        .size:           4
        .value_kind:     by_value
      - .offset:         64
        .size:           4
        .value_kind:     hidden_block_count_x
      - .offset:         68
        .size:           4
        .value_kind:     hidden_block_count_y
      - .offset:         72
        .size:           4
        .value_kind:     hidden_block_count_z
      - .offset:         76
        .size:           2
        .value_kind:     hidden_group_size_x
      - .offset:         78
        .size:           2
        .value_kind:     hidden_group_size_y
      - .offset:         80
        .size:           2
        .value_kind:     hidden_group_size_z
      - .offset:         82
        .size:           2
        .value_kind:     hidden_remainder_x
      - .offset:         84
        .size:           2
        .value_kind:     hidden_remainder_y
      - .offset:         86
        .size:           2
        .value_kind:     hidden_remainder_z
      - .offset:         104
        .size:           8
        .value_kind:     hidden_global_offset_x
      - .offset:         112
        .size:           8
        .value_kind:     hidden_global_offset_y
      - .offset:         120
        .size:           8
        .value_kind:     hidden_global_offset_z
      - .offset:         128
        .size:           2
        .value_kind:     hidden_grid_dims
    .group_segment_fixed_size: 0
    .kernarg_segment_align: 8
    .kernarg_segment_size: 320
    .language:       OpenCL C
    .language_version:
      - 2
      - 0
    .max_flat_workgroup_size: 1024
    .name:           _ZN9rocsolver6v33100L8copy_matIdPdNS0_7no_maskEEEvNS0_17copymat_directionEiiT0_iilPT_T1_13rocblas_fill_17rocblas_diagonal_
    .private_segment_fixed_size: 0
    .sgpr_count:     22
    .sgpr_spill_count: 0
    .symbol:         _ZN9rocsolver6v33100L8copy_matIdPdNS0_7no_maskEEEvNS0_17copymat_directionEiiT0_iilPT_T1_13rocblas_fill_17rocblas_diagonal_.kd
    .uniform_work_group_size: 1
    .uses_dynamic_stack: false
    .vgpr_count:     6
    .vgpr_spill_count: 0
    .wavefront_size: 64
  - .agpr_count:     0
    .args:
      - .offset:         0
        .size:           4
        .value_kind:     by_value
      - .address_space:  global
        .offset:         8
        .size:           8
        .value_kind:     global_buffer
      - .offset:         16
        .size:           8
        .value_kind:     by_value
      - .address_space:  global
        .offset:         24
        .size:           8
        .value_kind:     global_buffer
      - .offset:         32
        .size:           4
        .value_kind:     by_value
      - .offset:         36
        .size:           4
        .value_kind:     by_value
      - .offset:         40
        .size:           8
        .value_kind:     by_value
      - .offset:         48
        .size:           4
        .value_kind:     by_value
      - .address_space:  global
        .offset:         56
        .size:           8
        .value_kind:     global_buffer
      - .address_space:  global
        .offset:         64
        .size:           8
        .value_kind:     global_buffer
      - .offset:         72
        .size:           4
        .value_kind:     hidden_block_count_x
      - .offset:         76
        .size:           4
        .value_kind:     hidden_block_count_y
      - .offset:         80
        .size:           4
        .value_kind:     hidden_block_count_z
      - .offset:         84
        .size:           2
        .value_kind:     hidden_group_size_x
      - .offset:         86
        .size:           2
        .value_kind:     hidden_group_size_y
      - .offset:         88
        .size:           2
        .value_kind:     hidden_group_size_z
      - .offset:         90
        .size:           2
        .value_kind:     hidden_remainder_x
      - .offset:         92
        .size:           2
        .value_kind:     hidden_remainder_y
      - .offset:         94
        .size:           2
        .value_kind:     hidden_remainder_z
      - .offset:         112
        .size:           8
        .value_kind:     hidden_global_offset_x
      - .offset:         120
        .size:           8
        .value_kind:     hidden_global_offset_y
      - .offset:         128
        .size:           8
        .value_kind:     hidden_global_offset_z
      - .offset:         136
        .size:           2
        .value_kind:     hidden_grid_dims
      - .offset:         152
        .size:           8
        .value_kind:     hidden_hostcall_buffer
    .group_segment_fixed_size: 0
    .kernarg_segment_align: 8
    .kernarg_segment_size: 328
    .language:       OpenCL C
    .language_version:
      - 2
      - 0
    .max_flat_workgroup_size: 256
    .name:           _ZN9rocsolver6v33100L11stedcx_sortIddPdEEviPT0_lT1_iiliPiS6_
    .private_segment_fixed_size: 64
    .sgpr_count:     89
    .sgpr_spill_count: 0
    .symbol:         _ZN9rocsolver6v33100L11stedcx_sortIddPdEEviPT0_lT1_iiliPiS6_.kd
    .uniform_work_group_size: 1
    .uses_dynamic_stack: false
    .vgpr_count:     51
    .vgpr_spill_count: 0
    .wavefront_size: 64
  - .agpr_count:     0
    .args:
      - .address_space:  global
        .offset:         0
        .size:           8
        .value_kind:     global_buffer
      - .offset:         8
        .size:           8
        .value_kind:     by_value
      - .offset:         16
        .size:           4
        .value_kind:     by_value
      - .offset:         20
        .size:           4
        .value_kind:     by_value
      - .offset:         24
        .size:           4
        .value_kind:     hidden_block_count_x
      - .offset:         28
        .size:           4
        .value_kind:     hidden_block_count_y
      - .offset:         32
        .size:           4
        .value_kind:     hidden_block_count_z
      - .offset:         36
        .size:           2
        .value_kind:     hidden_group_size_x
      - .offset:         38
        .size:           2
        .value_kind:     hidden_group_size_y
      - .offset:         40
        .size:           2
        .value_kind:     hidden_group_size_z
      - .offset:         42
        .size:           2
        .value_kind:     hidden_remainder_x
      - .offset:         44
        .size:           2
        .value_kind:     hidden_remainder_y
      - .offset:         46
        .size:           2
        .value_kind:     hidden_remainder_z
      - .offset:         64
        .size:           8
        .value_kind:     hidden_global_offset_x
      - .offset:         72
        .size:           8
        .value_kind:     hidden_global_offset_y
      - .offset:         80
        .size:           8
        .value_kind:     hidden_global_offset_z
      - .offset:         88
        .size:           2
        .value_kind:     hidden_grid_dims
    .group_segment_fixed_size: 0
    .kernarg_segment_align: 8
    .kernarg_segment_size: 280
    .language:       OpenCL C
    .language_version:
      - 2
      - 0
    .max_flat_workgroup_size: 1024
    .name:           _ZN9rocsolver6v33100L16reset_batch_infoI19rocblas_complex_numIfEiiPS3_EEvT2_lT0_T1_
    .private_segment_fixed_size: 0
    .sgpr_count:     16
    .sgpr_spill_count: 0
    .symbol:         _ZN9rocsolver6v33100L16reset_batch_infoI19rocblas_complex_numIfEiiPS3_EEvT2_lT0_T1_.kd
    .uniform_work_group_size: 1
    .uses_dynamic_stack: false
    .vgpr_count:     4
    .vgpr_spill_count: 0
    .wavefront_size: 64
  - .agpr_count:     0
    .args:
      - .offset:         0
        .size:           4
        .value_kind:     by_value
      - .offset:         4
        .size:           4
        .value_kind:     by_value
      - .address_space:  global
        .offset:         8
        .size:           8
        .value_kind:     global_buffer
      - .offset:         16
        .size:           4
        .value_kind:     by_value
      - .offset:         20
        .size:           4
        .value_kind:     by_value
      - .offset:         24
        .size:           8
        .value_kind:     by_value
      - .offset:         32
        .size:           4
        .value_kind:     hidden_block_count_x
      - .offset:         36
        .size:           4
        .value_kind:     hidden_block_count_y
      - .offset:         40
        .size:           4
        .value_kind:     hidden_block_count_z
      - .offset:         44
        .size:           2
        .value_kind:     hidden_group_size_x
      - .offset:         46
        .size:           2
        .value_kind:     hidden_group_size_y
      - .offset:         48
        .size:           2
        .value_kind:     hidden_group_size_z
      - .offset:         50
        .size:           2
        .value_kind:     hidden_remainder_x
      - .offset:         52
        .size:           2
        .value_kind:     hidden_remainder_y
      - .offset:         54
        .size:           2
        .value_kind:     hidden_remainder_z
      - .offset:         72
        .size:           8
        .value_kind:     hidden_global_offset_x
      - .offset:         80
        .size:           8
        .value_kind:     hidden_global_offset_y
      - .offset:         88
        .size:           8
        .value_kind:     hidden_global_offset_z
      - .offset:         96
        .size:           2
        .value_kind:     hidden_grid_dims
    .group_segment_fixed_size: 0
    .kernarg_segment_align: 8
    .kernarg_segment_size: 288
    .language:       OpenCL C
    .language_version:
      - 2
      - 0
    .max_flat_workgroup_size: 1024
    .name:           _ZN9rocsolver6v33100L10init_identI19rocblas_complex_numIfEPS3_EEviiT0_iil
    .private_segment_fixed_size: 0
    .sgpr_count:     13
    .sgpr_spill_count: 0
    .symbol:         _ZN9rocsolver6v33100L10init_identI19rocblas_complex_numIfEPS3_EEviiT0_iil.kd
    .uniform_work_group_size: 1
    .uses_dynamic_stack: false
    .vgpr_count:     6
    .vgpr_spill_count: 0
    .wavefront_size: 64
  - .agpr_count:     0
    .args:
      - .offset:         0
        .size:           4
        .value_kind:     by_value
      - .offset:         4
        .size:           4
        .value_kind:     by_value
      - .offset:         8
        .size:           4
        .value_kind:     by_value
      - .address_space:  global
        .offset:         16
        .size:           8
        .value_kind:     global_buffer
      - .offset:         24
        .size:           4
        .value_kind:     by_value
      - .offset:         28
        .size:           4
        .value_kind:     by_value
      - .offset:         32
        .size:           8
        .value_kind:     by_value
      - .address_space:  global
        .offset:         40
        .size:           8
        .value_kind:     global_buffer
      - .offset:         48
        .size:           4
        .value_kind:     by_value
      - .offset:         52
        .size:           4
        .value_kind:     by_value
      - .offset:         56
        .size:           4
        .value_kind:     hidden_block_count_x
      - .offset:         60
        .size:           4
        .value_kind:     hidden_block_count_y
      - .offset:         64
        .size:           4
        .value_kind:     hidden_block_count_z
      - .offset:         68
        .size:           2
        .value_kind:     hidden_group_size_x
      - .offset:         70
        .size:           2
        .value_kind:     hidden_group_size_y
      - .offset:         72
        .size:           2
        .value_kind:     hidden_group_size_z
      - .offset:         74
        .size:           2
        .value_kind:     hidden_remainder_x
      - .offset:         76
        .size:           2
        .value_kind:     hidden_remainder_y
      - .offset:         78
        .size:           2
        .value_kind:     hidden_remainder_z
      - .offset:         96
        .size:           8
        .value_kind:     hidden_global_offset_x
      - .offset:         104
        .size:           8
        .value_kind:     hidden_global_offset_y
      - .offset:         112
        .size:           8
        .value_kind:     hidden_global_offset_z
      - .offset:         120
        .size:           2
        .value_kind:     hidden_grid_dims
    .group_segment_fixed_size: 0
    .kernarg_segment_align: 8
    .kernarg_segment_size: 312
    .language:       OpenCL C
    .language_version:
      - 2
      - 0
    .max_flat_workgroup_size: 1024
    .name:           _ZN9rocsolver6v33100L8copy_matI19rocblas_complex_numIfEfLb1EPS3_TnNSt9enable_ifIX18rocblas_is_complexIT_EEiE4typeELi0EEEvNS0_17copymat_directionEiiT2_iilPT0_13rocblas_fill_17rocblas_diagonal_
    .private_segment_fixed_size: 0
    .sgpr_count:     22
    .sgpr_spill_count: 0
    .symbol:         _ZN9rocsolver6v33100L8copy_matI19rocblas_complex_numIfEfLb1EPS3_TnNSt9enable_ifIX18rocblas_is_complexIT_EEiE4typeELi0EEEvNS0_17copymat_directionEiiT2_iilPT0_13rocblas_fill_17rocblas_diagonal_.kd
    .uniform_work_group_size: 1
    .uses_dynamic_stack: false
    .vgpr_count:     8
    .vgpr_spill_count: 0
    .wavefront_size: 64
  - .agpr_count:     0
    .args:
      - .offset:         0
        .size:           4
        .value_kind:     by_value
      - .offset:         4
        .size:           4
        .value_kind:     by_value
      - .offset:         8
        .size:           4
        .value_kind:     by_value
      - .address_space:  global
        .offset:         16
        .size:           8
        .value_kind:     global_buffer
      - .offset:         24
        .size:           4
        .value_kind:     by_value
      - .offset:         28
        .size:           4
        .value_kind:     by_value
      - .offset:         32
        .size:           8
        .value_kind:     by_value
      - .address_space:  global
        .offset:         40
        .size:           8
        .value_kind:     global_buffer
      - .offset:         48
        .size:           4
        .value_kind:     by_value
      - .offset:         52
        .size:           4
        .value_kind:     by_value
      - .offset:         56
        .size:           4
        .value_kind:     hidden_block_count_x
      - .offset:         60
        .size:           4
        .value_kind:     hidden_block_count_y
      - .offset:         64
        .size:           4
        .value_kind:     hidden_block_count_z
      - .offset:         68
        .size:           2
        .value_kind:     hidden_group_size_x
      - .offset:         70
        .size:           2
        .value_kind:     hidden_group_size_y
      - .offset:         72
        .size:           2
        .value_kind:     hidden_group_size_z
      - .offset:         74
        .size:           2
        .value_kind:     hidden_remainder_x
      - .offset:         76
        .size:           2
        .value_kind:     hidden_remainder_y
      - .offset:         78
        .size:           2
        .value_kind:     hidden_remainder_z
      - .offset:         96
        .size:           8
        .value_kind:     hidden_global_offset_x
      - .offset:         104
        .size:           8
        .value_kind:     hidden_global_offset_y
      - .offset:         112
        .size:           8
        .value_kind:     hidden_global_offset_z
      - .offset:         120
        .size:           2
        .value_kind:     hidden_grid_dims
    .group_segment_fixed_size: 0
    .kernarg_segment_align: 8
    .kernarg_segment_size: 312
    .language:       OpenCL C
    .language_version:
      - 2
      - 0
    .max_flat_workgroup_size: 1024
    .name:           _ZN9rocsolver6v33100L8copy_matI19rocblas_complex_numIfEfLb0EPS3_TnNSt9enable_ifIX18rocblas_is_complexIT_EEiE4typeELi0EEEvNS0_17copymat_directionEiiT2_iilPT0_13rocblas_fill_17rocblas_diagonal_
    .private_segment_fixed_size: 0
    .sgpr_count:     28
    .sgpr_spill_count: 0
    .symbol:         _ZN9rocsolver6v33100L8copy_matI19rocblas_complex_numIfEfLb0EPS3_TnNSt9enable_ifIX18rocblas_is_complexIT_EEiE4typeELi0EEEvNS0_17copymat_directionEiiT2_iilPT0_13rocblas_fill_17rocblas_diagonal_.kd
    .uniform_work_group_size: 1
    .uses_dynamic_stack: false
    .vgpr_count:     8
    .vgpr_spill_count: 0
    .wavefront_size: 64
  - .agpr_count:     0
    .args:
      - .offset:         0
        .size:           4
        .value_kind:     by_value
      - .address_space:  global
        .offset:         8
        .size:           8
        .value_kind:     global_buffer
      - .offset:         16
        .size:           8
        .value_kind:     by_value
      - .address_space:  global
        .offset:         24
        .size:           8
        .value_kind:     global_buffer
      - .offset:         32
        .size:           4
        .value_kind:     by_value
      - .offset:         36
        .size:           4
        .value_kind:     by_value
      - .offset:         40
        .size:           8
        .value_kind:     by_value
      - .offset:         48
        .size:           4
        .value_kind:     by_value
      - .address_space:  global
        .offset:         56
        .size:           8
        .value_kind:     global_buffer
      - .address_space:  global
        .offset:         64
        .size:           8
        .value_kind:     global_buffer
      - .offset:         72
        .size:           4
        .value_kind:     hidden_block_count_x
      - .offset:         76
        .size:           4
        .value_kind:     hidden_block_count_y
      - .offset:         80
        .size:           4
        .value_kind:     hidden_block_count_z
      - .offset:         84
        .size:           2
        .value_kind:     hidden_group_size_x
      - .offset:         86
        .size:           2
        .value_kind:     hidden_group_size_y
      - .offset:         88
        .size:           2
        .value_kind:     hidden_group_size_z
      - .offset:         90
        .size:           2
        .value_kind:     hidden_remainder_x
      - .offset:         92
        .size:           2
        .value_kind:     hidden_remainder_y
      - .offset:         94
        .size:           2
        .value_kind:     hidden_remainder_z
      - .offset:         112
        .size:           8
        .value_kind:     hidden_global_offset_x
      - .offset:         120
        .size:           8
        .value_kind:     hidden_global_offset_y
      - .offset:         128
        .size:           8
        .value_kind:     hidden_global_offset_z
      - .offset:         136
        .size:           2
        .value_kind:     hidden_grid_dims
      - .offset:         152
        .size:           8
        .value_kind:     hidden_hostcall_buffer
    .group_segment_fixed_size: 0
    .kernarg_segment_align: 8
    .kernarg_segment_size: 328
    .language:       OpenCL C
    .language_version:
      - 2
      - 0
    .max_flat_workgroup_size: 256
    .name:           _ZN9rocsolver6v33100L11stedcx_sortI19rocblas_complex_numIfEfPS3_EEviPT0_lT1_iiliPiS8_
    .private_segment_fixed_size: 64
    .sgpr_count:     89
    .sgpr_spill_count: 0
    .symbol:         _ZN9rocsolver6v33100L11stedcx_sortI19rocblas_complex_numIfEfPS3_EEviPT0_lT1_iiliPiS8_.kd
    .uniform_work_group_size: 1
    .uses_dynamic_stack: false
    .vgpr_count:     51
    .vgpr_spill_count: 0
    .wavefront_size: 64
  - .agpr_count:     0
    .args:
      - .address_space:  global
        .offset:         0
        .size:           8
        .value_kind:     global_buffer
      - .offset:         8
        .size:           8
        .value_kind:     by_value
      - .offset:         16
        .size:           4
        .value_kind:     by_value
      - .offset:         20
        .size:           4
        .value_kind:     by_value
      - .offset:         24
        .size:           4
        .value_kind:     hidden_block_count_x
      - .offset:         28
        .size:           4
        .value_kind:     hidden_block_count_y
      - .offset:         32
        .size:           4
        .value_kind:     hidden_block_count_z
      - .offset:         36
        .size:           2
        .value_kind:     hidden_group_size_x
      - .offset:         38
        .size:           2
        .value_kind:     hidden_group_size_y
      - .offset:         40
        .size:           2
        .value_kind:     hidden_group_size_z
      - .offset:         42
        .size:           2
        .value_kind:     hidden_remainder_x
      - .offset:         44
        .size:           2
        .value_kind:     hidden_remainder_y
      - .offset:         46
        .size:           2
        .value_kind:     hidden_remainder_z
      - .offset:         64
        .size:           8
        .value_kind:     hidden_global_offset_x
      - .offset:         72
        .size:           8
        .value_kind:     hidden_global_offset_y
      - .offset:         80
        .size:           8
        .value_kind:     hidden_global_offset_z
      - .offset:         88
        .size:           2
        .value_kind:     hidden_grid_dims
    .group_segment_fixed_size: 0
    .kernarg_segment_align: 8
    .kernarg_segment_size: 280
    .language:       OpenCL C
    .language_version:
      - 2
      - 0
    .max_flat_workgroup_size: 1024
    .name:           _ZN9rocsolver6v33100L16reset_batch_infoI19rocblas_complex_numIdEiiPS3_EEvT2_lT0_T1_
    .private_segment_fixed_size: 0
    .sgpr_count:     16
    .sgpr_spill_count: 0
    .symbol:         _ZN9rocsolver6v33100L16reset_batch_infoI19rocblas_complex_numIdEiiPS3_EEvT2_lT0_T1_.kd
    .uniform_work_group_size: 1
    .uses_dynamic_stack: false
    .vgpr_count:     6
    .vgpr_spill_count: 0
    .wavefront_size: 64
  - .agpr_count:     0
    .args:
      - .offset:         0
        .size:           4
        .value_kind:     by_value
      - .offset:         4
        .size:           4
        .value_kind:     by_value
      - .address_space:  global
        .offset:         8
        .size:           8
        .value_kind:     global_buffer
      - .offset:         16
        .size:           4
        .value_kind:     by_value
      - .offset:         20
        .size:           4
        .value_kind:     by_value
      - .offset:         24
        .size:           8
        .value_kind:     by_value
      - .offset:         32
        .size:           4
        .value_kind:     hidden_block_count_x
      - .offset:         36
        .size:           4
        .value_kind:     hidden_block_count_y
      - .offset:         40
        .size:           4
        .value_kind:     hidden_block_count_z
      - .offset:         44
        .size:           2
        .value_kind:     hidden_group_size_x
      - .offset:         46
        .size:           2
        .value_kind:     hidden_group_size_y
      - .offset:         48
        .size:           2
        .value_kind:     hidden_group_size_z
      - .offset:         50
        .size:           2
        .value_kind:     hidden_remainder_x
      - .offset:         52
        .size:           2
        .value_kind:     hidden_remainder_y
      - .offset:         54
        .size:           2
        .value_kind:     hidden_remainder_z
      - .offset:         72
        .size:           8
        .value_kind:     hidden_global_offset_x
      - .offset:         80
        .size:           8
        .value_kind:     hidden_global_offset_y
      - .offset:         88
        .size:           8
        .value_kind:     hidden_global_offset_z
      - .offset:         96
        .size:           2
        .value_kind:     hidden_grid_dims
    .group_segment_fixed_size: 0
    .kernarg_segment_align: 8
    .kernarg_segment_size: 288
    .language:       OpenCL C
    .language_version:
      - 2
      - 0
    .max_flat_workgroup_size: 1024
    .name:           _ZN9rocsolver6v33100L10init_identI19rocblas_complex_numIdEPS3_EEviiT0_iil
    .private_segment_fixed_size: 0
    .sgpr_count:     13
    .sgpr_spill_count: 0
    .symbol:         _ZN9rocsolver6v33100L10init_identI19rocblas_complex_numIdEPS3_EEviiT0_iil.kd
    .uniform_work_group_size: 1
    .uses_dynamic_stack: false
    .vgpr_count:     6
    .vgpr_spill_count: 0
    .wavefront_size: 64
  - .agpr_count:     0
    .args:
      - .offset:         0
        .size:           4
        .value_kind:     by_value
      - .offset:         4
        .size:           4
        .value_kind:     by_value
      - .offset:         8
        .size:           4
        .value_kind:     by_value
      - .address_space:  global
        .offset:         16
        .size:           8
        .value_kind:     global_buffer
      - .offset:         24
        .size:           4
        .value_kind:     by_value
      - .offset:         28
        .size:           4
        .value_kind:     by_value
      - .offset:         32
        .size:           8
        .value_kind:     by_value
      - .address_space:  global
        .offset:         40
        .size:           8
        .value_kind:     global_buffer
      - .offset:         48
        .size:           4
        .value_kind:     by_value
      - .offset:         52
        .size:           4
        .value_kind:     by_value
      - .offset:         56
        .size:           4
        .value_kind:     hidden_block_count_x
      - .offset:         60
        .size:           4
        .value_kind:     hidden_block_count_y
      - .offset:         64
        .size:           4
        .value_kind:     hidden_block_count_z
      - .offset:         68
        .size:           2
        .value_kind:     hidden_group_size_x
      - .offset:         70
        .size:           2
        .value_kind:     hidden_group_size_y
      - .offset:         72
        .size:           2
        .value_kind:     hidden_group_size_z
      - .offset:         74
        .size:           2
        .value_kind:     hidden_remainder_x
      - .offset:         76
        .size:           2
        .value_kind:     hidden_remainder_y
      - .offset:         78
        .size:           2
        .value_kind:     hidden_remainder_z
      - .offset:         96
        .size:           8
        .value_kind:     hidden_global_offset_x
      - .offset:         104
        .size:           8
        .value_kind:     hidden_global_offset_y
      - .offset:         112
        .size:           8
        .value_kind:     hidden_global_offset_z
      - .offset:         120
        .size:           2
        .value_kind:     hidden_grid_dims
    .group_segment_fixed_size: 0
    .kernarg_segment_align: 8
    .kernarg_segment_size: 312
    .language:       OpenCL C
    .language_version:
      - 2
      - 0
    .max_flat_workgroup_size: 1024
    .name:           _ZN9rocsolver6v33100L8copy_matI19rocblas_complex_numIdEdLb1EPS3_TnNSt9enable_ifIX18rocblas_is_complexIT_EEiE4typeELi0EEEvNS0_17copymat_directionEiiT2_iilPT0_13rocblas_fill_17rocblas_diagonal_
    .private_segment_fixed_size: 0
    .sgpr_count:     22
    .sgpr_spill_count: 0
    .symbol:         _ZN9rocsolver6v33100L8copy_matI19rocblas_complex_numIdEdLb1EPS3_TnNSt9enable_ifIX18rocblas_is_complexIT_EEiE4typeELi0EEEvNS0_17copymat_directionEiiT2_iilPT0_13rocblas_fill_17rocblas_diagonal_.kd
    .uniform_work_group_size: 1
    .uses_dynamic_stack: false
    .vgpr_count:     9
    .vgpr_spill_count: 0
    .wavefront_size: 64
  - .agpr_count:     0
    .args:
      - .offset:         0
        .size:           4
        .value_kind:     by_value
      - .offset:         4
        .size:           4
        .value_kind:     by_value
      - .offset:         8
        .size:           4
        .value_kind:     by_value
      - .address_space:  global
        .offset:         16
        .size:           8
        .value_kind:     global_buffer
      - .offset:         24
        .size:           4
        .value_kind:     by_value
      - .offset:         28
        .size:           4
        .value_kind:     by_value
      - .offset:         32
        .size:           8
        .value_kind:     by_value
      - .address_space:  global
        .offset:         40
        .size:           8
        .value_kind:     global_buffer
      - .offset:         48
        .size:           4
        .value_kind:     by_value
      - .offset:         52
        .size:           4
        .value_kind:     by_value
      - .offset:         56
        .size:           4
        .value_kind:     hidden_block_count_x
      - .offset:         60
        .size:           4
        .value_kind:     hidden_block_count_y
      - .offset:         64
        .size:           4
        .value_kind:     hidden_block_count_z
      - .offset:         68
        .size:           2
        .value_kind:     hidden_group_size_x
      - .offset:         70
        .size:           2
        .value_kind:     hidden_group_size_y
      - .offset:         72
        .size:           2
        .value_kind:     hidden_group_size_z
      - .offset:         74
        .size:           2
        .value_kind:     hidden_remainder_x
      - .offset:         76
        .size:           2
        .value_kind:     hidden_remainder_y
      - .offset:         78
        .size:           2
        .value_kind:     hidden_remainder_z
      - .offset:         96
        .size:           8
        .value_kind:     hidden_global_offset_x
      - .offset:         104
        .size:           8
        .value_kind:     hidden_global_offset_y
      - .offset:         112
        .size:           8
        .value_kind:     hidden_global_offset_z
      - .offset:         120
        .size:           2
        .value_kind:     hidden_grid_dims
    .group_segment_fixed_size: 0
    .kernarg_segment_align: 8
    .kernarg_segment_size: 312
    .language:       OpenCL C
    .language_version:
      - 2
      - 0
    .max_flat_workgroup_size: 1024
    .name:           _ZN9rocsolver6v33100L8copy_matI19rocblas_complex_numIdEdLb0EPS3_TnNSt9enable_ifIX18rocblas_is_complexIT_EEiE4typeELi0EEEvNS0_17copymat_directionEiiT2_iilPT0_13rocblas_fill_17rocblas_diagonal_
    .private_segment_fixed_size: 0
    .sgpr_count:     28
    .sgpr_spill_count: 0
    .symbol:         _ZN9rocsolver6v33100L8copy_matI19rocblas_complex_numIdEdLb0EPS3_TnNSt9enable_ifIX18rocblas_is_complexIT_EEiE4typeELi0EEEvNS0_17copymat_directionEiiT2_iilPT0_13rocblas_fill_17rocblas_diagonal_.kd
    .uniform_work_group_size: 1
    .uses_dynamic_stack: false
    .vgpr_count:     8
    .vgpr_spill_count: 0
    .wavefront_size: 64
  - .agpr_count:     0
    .args:
      - .offset:         0
        .size:           4
        .value_kind:     by_value
      - .address_space:  global
        .offset:         8
        .size:           8
        .value_kind:     global_buffer
      - .offset:         16
        .size:           8
        .value_kind:     by_value
      - .address_space:  global
        .offset:         24
        .size:           8
        .value_kind:     global_buffer
      - .offset:         32
        .size:           4
        .value_kind:     by_value
      - .offset:         36
        .size:           4
        .value_kind:     by_value
      - .offset:         40
        .size:           8
        .value_kind:     by_value
      - .offset:         48
        .size:           4
        .value_kind:     by_value
      - .address_space:  global
        .offset:         56
        .size:           8
        .value_kind:     global_buffer
      - .address_space:  global
        .offset:         64
        .size:           8
        .value_kind:     global_buffer
      - .offset:         72
        .size:           4
        .value_kind:     hidden_block_count_x
      - .offset:         76
        .size:           4
        .value_kind:     hidden_block_count_y
      - .offset:         80
        .size:           4
        .value_kind:     hidden_block_count_z
      - .offset:         84
        .size:           2
        .value_kind:     hidden_group_size_x
      - .offset:         86
        .size:           2
        .value_kind:     hidden_group_size_y
      - .offset:         88
        .size:           2
        .value_kind:     hidden_group_size_z
      - .offset:         90
        .size:           2
        .value_kind:     hidden_remainder_x
      - .offset:         92
        .size:           2
        .value_kind:     hidden_remainder_y
      - .offset:         94
        .size:           2
        .value_kind:     hidden_remainder_z
      - .offset:         112
        .size:           8
        .value_kind:     hidden_global_offset_x
      - .offset:         120
        .size:           8
        .value_kind:     hidden_global_offset_y
      - .offset:         128
        .size:           8
        .value_kind:     hidden_global_offset_z
      - .offset:         136
        .size:           2
        .value_kind:     hidden_grid_dims
      - .offset:         152
        .size:           8
        .value_kind:     hidden_hostcall_buffer
    .group_segment_fixed_size: 4096
    .kernarg_segment_align: 8
    .kernarg_segment_size: 328
    .language:       OpenCL C
    .language_version:
      - 2
      - 0
    .max_flat_workgroup_size: 256
    .name:           _ZN9rocsolver6v33100L11stedcx_sortI19rocblas_complex_numIdEdPS3_EEviPT0_lT1_iiliPiS8_
    .private_segment_fixed_size: 64
    .sgpr_count:     89
    .sgpr_spill_count: 0
    .symbol:         _ZN9rocsolver6v33100L11stedcx_sortI19rocblas_complex_numIdEdPS3_EEviPT0_lT1_iiliPiS8_.kd
    .uniform_work_group_size: 1
    .uses_dynamic_stack: false
    .vgpr_count:     51
    .vgpr_spill_count: 0
    .wavefront_size: 64
amdhsa.target:   amdgcn-amd-amdhsa--gfx90a
amdhsa.version:
  - 1
  - 2
...

	.end_amdgpu_metadata
